;; amdgpu-corpus repo=ParRes/Kernels kind=compiled arch=gfx1030 opt=O3
	.text
	.amdgcn_target "amdgcn-amd-amdhsa--gfx1030"
	.amdhsa_code_object_version 6
	.protected	_Z5star1iPKdPd          ; -- Begin function _Z5star1iPKdPd
	.globl	_Z5star1iPKdPd
	.p2align	8
	.type	_Z5star1iPKdPd,@function
_Z5star1iPKdPd:                         ; @_Z5star1iPKdPd
; %bb.0:
	s_clause 0x1
	s_load_dword s0, s[4:5], 0x24
	s_load_dword s1, s[4:5], 0x0
	s_waitcnt lgkmcnt(0)
	s_lshr_b32 s2, s0, 16
	s_and_b32 s0, s0, 0xffff
	v_mad_u64_u32 v[2:3], null, s6, s0, v[0:1]
	s_add_i32 s0, s1, -1
	v_mad_u64_u32 v[0:1], null, s7, s2, v[1:2]
	v_max_i32_e32 v1, v2, v0
	v_min_i32_e32 v3, v0, v2
	v_cmp_gt_i32_e32 vcc_lo, s0, v1
	v_cmp_lt_i32_e64 s0, 0, v3
	s_and_b32 s0, s0, vcc_lo
	s_and_saveexec_b32 s2, s0
	s_cbranch_execz .LBB0_2
; %bb.1:
	v_mul_lo_u32 v10, v2, s1
	s_load_dwordx4 s[4:7], s[4:5], 0x8
	v_ashrrev_i32_e32 v6, 31, v0
	v_subrev_nc_u32_e32 v1, s1, v10
	v_ashrrev_i32_e32 v5, 31, v10
	v_add_nc_u32_e32 v1, v1, v0
	v_ashrrev_i32_e32 v2, 31, v1
	v_lshlrev_b64 v[2:3], 3, v[1:2]
	s_waitcnt lgkmcnt(0)
	v_add_co_u32 v2, vcc_lo, s4, v2
	v_add_co_ci_u32_e32 v3, vcc_lo, s5, v3, vcc_lo
	v_add_co_u32 v4, vcc_lo, v0, v10
	v_add_co_ci_u32_e32 v5, vcc_lo, v6, v5, vcc_lo
	global_load_dwordx2 v[2:3], v[2:3], off
	v_lshl_add_u32 v6, s1, 1, v1
	v_add_nc_u32_e32 v0, v10, v0
	v_lshlrev_b64 v[4:5], 3, v[4:5]
	v_ashrrev_i32_e32 v7, 31, v6
	v_ashrrev_i32_e32 v1, 31, v0
	v_add_co_u32 v4, vcc_lo, s4, v4
	v_add_co_ci_u32_e32 v5, vcc_lo, s5, v5, vcc_lo
	v_lshlrev_b64 v[6:7], 3, v[6:7]
	v_lshlrev_b64 v[0:1], 3, v[0:1]
	global_load_dwordx2 v[8:9], v[4:5], off offset:-8
	v_add_co_u32 v6, vcc_lo, s4, v6
	v_add_co_ci_u32_e32 v7, vcc_lo, s5, v7, vcc_lo
	v_add_co_u32 v0, vcc_lo, s6, v0
	v_add_co_ci_u32_e32 v1, vcc_lo, s7, v1, vcc_lo
	s_clause 0x1
	global_load_dwordx2 v[6:7], v[6:7], off
	global_load_dwordx2 v[4:5], v[4:5], off offset:8
	global_load_dwordx2 v[10:11], v[0:1], off
	s_waitcnt vmcnt(4)
	v_mul_f64 v[2:3], v[2:3], -0.5
	s_waitcnt vmcnt(3)
	v_fma_f64 v[2:3], v[8:9], -0.5, v[2:3]
	s_waitcnt vmcnt(2)
	v_fma_f64 v[2:3], v[6:7], 0.5, v[2:3]
	s_waitcnt vmcnt(1)
	v_fma_f64 v[2:3], v[4:5], 0.5, v[2:3]
	s_waitcnt vmcnt(0)
	v_add_f64 v[2:3], v[10:11], v[2:3]
	global_store_dwordx2 v[0:1], v[2:3], off
.LBB0_2:
	s_endpgm
	.section	.rodata,"a",@progbits
	.p2align	6, 0x0
	.amdhsa_kernel _Z5star1iPKdPd
		.amdhsa_group_segment_fixed_size 0
		.amdhsa_private_segment_fixed_size 0
		.amdhsa_kernarg_size 280
		.amdhsa_user_sgpr_count 6
		.amdhsa_user_sgpr_private_segment_buffer 1
		.amdhsa_user_sgpr_dispatch_ptr 0
		.amdhsa_user_sgpr_queue_ptr 0
		.amdhsa_user_sgpr_kernarg_segment_ptr 1
		.amdhsa_user_sgpr_dispatch_id 0
		.amdhsa_user_sgpr_flat_scratch_init 0
		.amdhsa_user_sgpr_private_segment_size 0
		.amdhsa_wavefront_size32 1
		.amdhsa_uses_dynamic_stack 0
		.amdhsa_system_sgpr_private_segment_wavefront_offset 0
		.amdhsa_system_sgpr_workgroup_id_x 1
		.amdhsa_system_sgpr_workgroup_id_y 1
		.amdhsa_system_sgpr_workgroup_id_z 0
		.amdhsa_system_sgpr_workgroup_info 0
		.amdhsa_system_vgpr_workitem_id 1
		.amdhsa_next_free_vgpr 12
		.amdhsa_next_free_sgpr 8
		.amdhsa_reserve_vcc 1
		.amdhsa_reserve_flat_scratch 0
		.amdhsa_float_round_mode_32 0
		.amdhsa_float_round_mode_16_64 0
		.amdhsa_float_denorm_mode_32 3
		.amdhsa_float_denorm_mode_16_64 3
		.amdhsa_dx10_clamp 1
		.amdhsa_ieee_mode 1
		.amdhsa_fp16_overflow 0
		.amdhsa_workgroup_processor_mode 1
		.amdhsa_memory_ordered 1
		.amdhsa_forward_progress 0
		.amdhsa_shared_vgpr_count 0
		.amdhsa_exception_fp_ieee_invalid_op 0
		.amdhsa_exception_fp_denorm_src 0
		.amdhsa_exception_fp_ieee_div_zero 0
		.amdhsa_exception_fp_ieee_overflow 0
		.amdhsa_exception_fp_ieee_underflow 0
		.amdhsa_exception_fp_ieee_inexact 0
		.amdhsa_exception_int_div_zero 0
	.end_amdhsa_kernel
	.text
.Lfunc_end0:
	.size	_Z5star1iPKdPd, .Lfunc_end0-_Z5star1iPKdPd
                                        ; -- End function
	.section	.AMDGPU.csdata,"",@progbits
; Kernel info:
; codeLenInByte = 356
; NumSgprs: 10
; NumVgprs: 12
; ScratchSize: 0
; MemoryBound: 0
; FloatMode: 240
; IeeeMode: 1
; LDSByteSize: 0 bytes/workgroup (compile time only)
; SGPRBlocks: 1
; VGPRBlocks: 1
; NumSGPRsForWavesPerEU: 10
; NumVGPRsForWavesPerEU: 12
; Occupancy: 16
; WaveLimiterHint : 0
; COMPUTE_PGM_RSRC2:SCRATCH_EN: 0
; COMPUTE_PGM_RSRC2:USER_SGPR: 6
; COMPUTE_PGM_RSRC2:TRAP_HANDLER: 0
; COMPUTE_PGM_RSRC2:TGID_X_EN: 1
; COMPUTE_PGM_RSRC2:TGID_Y_EN: 1
; COMPUTE_PGM_RSRC2:TGID_Z_EN: 0
; COMPUTE_PGM_RSRC2:TIDIG_COMP_CNT: 1
	.text
	.protected	_Z5star2iPKdPd          ; -- Begin function _Z5star2iPKdPd
	.globl	_Z5star2iPKdPd
	.p2align	8
	.type	_Z5star2iPKdPd,@function
_Z5star2iPKdPd:                         ; @_Z5star2iPKdPd
; %bb.0:
	s_clause 0x1
	s_load_dword s0, s[4:5], 0x24
	s_load_dword s8, s[4:5], 0x0
	s_waitcnt lgkmcnt(0)
	s_lshr_b32 s1, s0, 16
	s_and_b32 s0, s0, 0xffff
	v_mad_u64_u32 v[2:3], null, s6, s0, v[0:1]
	s_add_i32 s0, s8, -2
	v_mad_u64_u32 v[0:1], null, s7, s1, v[1:2]
	v_max_i32_e32 v1, v2, v0
	v_min_i32_e32 v3, v0, v2
	v_cmp_gt_i32_e32 vcc_lo, s0, v1
	v_cmp_lt_i32_e64 s0, 1, v3
	s_and_b32 s0, s0, vcc_lo
	s_and_saveexec_b32 s1, s0
	s_cbranch_execz .LBB1_2
; %bb.1:
	v_mul_lo_u32 v17, v2, s8
	s_load_dwordx4 s[0:3], s[4:5], 0x8
	v_ashrrev_i32_e32 v2, 31, v0
	s_lshl_b32 s4, s8, 1
	v_ashrrev_i32_e32 v3, 31, v17
	v_add_co_u32 v1, vcc_lo, v0, v17
	v_subrev_nc_u32_e32 v7, s4, v17
	v_add_nc_u32_e32 v17, v17, v0
	v_add_co_ci_u32_e32 v2, vcc_lo, v2, v3, vcc_lo
	v_add_nc_u32_e32 v7, v7, v0
	v_ashrrev_i32_e32 v18, 31, v17
	v_lshlrev_b64 v[1:2], 3, v[1:2]
	v_ashrrev_i32_e32 v8, 31, v7
	v_lshlrev_b64 v[17:18], 3, v[17:18]
	s_waitcnt lgkmcnt(0)
	v_add_co_u32 v5, vcc_lo, s0, v1
	v_add_co_ci_u32_e32 v6, vcc_lo, s1, v2, vcc_lo
	v_lshlrev_b64 v[8:9], 3, v[7:8]
	v_add_nc_u32_e32 v7, s8, v7
	global_load_dwordx4 v[1:4], v[5:6], off offset:-16
	v_add_co_u32 v8, vcc_lo, s0, v8
	v_add_co_ci_u32_e32 v9, vcc_lo, s1, v9, vcc_lo
	global_load_dwordx2 v[9:10], v[8:9], off
	v_ashrrev_i32_e32 v8, 31, v7
	v_lshlrev_b64 v[11:12], 3, v[7:8]
	v_add_nc_u32_e32 v7, s4, v7
	v_add_co_u32 v11, vcc_lo, s0, v11
	v_add_co_ci_u32_e32 v12, vcc_lo, s1, v12, vcc_lo
	v_ashrrev_i32_e32 v8, 31, v7
	global_load_dwordx2 v[11:12], v[11:12], off
	v_lshlrev_b64 v[13:14], 3, v[7:8]
	v_add_nc_u32_e32 v7, s8, v7
	v_add_co_u32 v13, vcc_lo, s0, v13
	v_add_co_ci_u32_e32 v14, vcc_lo, s1, v14, vcc_lo
	v_ashrrev_i32_e32 v8, 31, v7
	global_load_dwordx2 v[13:14], v[13:14], off
	v_lshlrev_b64 v[7:8], 3, v[7:8]
	v_add_co_u32 v7, vcc_lo, s0, v7
	v_add_co_ci_u32_e32 v8, vcc_lo, s1, v8, vcc_lo
	s_clause 0x1
	global_load_dwordx2 v[15:16], v[7:8], off
	global_load_dwordx4 v[5:8], v[5:6], off offset:8
	v_add_co_u32 v17, vcc_lo, s2, v17
	v_add_co_ci_u32_e32 v18, vcc_lo, s3, v18, vcc_lo
	global_load_dwordx2 v[19:20], v[17:18], off
	s_waitcnt vmcnt(6)
	v_ldexp_f64 v[3:4], -v[3:4], -2
	v_fma_f64 v[0:1], 0xbfc00000, v[1:2], v[3:4]
	s_waitcnt vmcnt(5)
	v_fma_f64 v[0:1], 0xbfc00000, v[9:10], v[0:1]
	s_waitcnt vmcnt(4)
	;; [unrolled: 2-line block ×5, first 2 shown]
	v_fma_f64 v[0:1], 0x3fd00000, v[5:6], v[0:1]
	v_fma_f64 v[0:1], 0x3fc00000, v[7:8], v[0:1]
	s_waitcnt vmcnt(0)
	v_add_f64 v[0:1], v[19:20], v[0:1]
	global_store_dwordx2 v[17:18], v[0:1], off
.LBB1_2:
	s_endpgm
	.section	.rodata,"a",@progbits
	.p2align	6, 0x0
	.amdhsa_kernel _Z5star2iPKdPd
		.amdhsa_group_segment_fixed_size 0
		.amdhsa_private_segment_fixed_size 0
		.amdhsa_kernarg_size 280
		.amdhsa_user_sgpr_count 6
		.amdhsa_user_sgpr_private_segment_buffer 1
		.amdhsa_user_sgpr_dispatch_ptr 0
		.amdhsa_user_sgpr_queue_ptr 0
		.amdhsa_user_sgpr_kernarg_segment_ptr 1
		.amdhsa_user_sgpr_dispatch_id 0
		.amdhsa_user_sgpr_flat_scratch_init 0
		.amdhsa_user_sgpr_private_segment_size 0
		.amdhsa_wavefront_size32 1
		.amdhsa_uses_dynamic_stack 0
		.amdhsa_system_sgpr_private_segment_wavefront_offset 0
		.amdhsa_system_sgpr_workgroup_id_x 1
		.amdhsa_system_sgpr_workgroup_id_y 1
		.amdhsa_system_sgpr_workgroup_id_z 0
		.amdhsa_system_sgpr_workgroup_info 0
		.amdhsa_system_vgpr_workitem_id 1
		.amdhsa_next_free_vgpr 21
		.amdhsa_next_free_sgpr 9
		.amdhsa_reserve_vcc 1
		.amdhsa_reserve_flat_scratch 0
		.amdhsa_float_round_mode_32 0
		.amdhsa_float_round_mode_16_64 0
		.amdhsa_float_denorm_mode_32 3
		.amdhsa_float_denorm_mode_16_64 3
		.amdhsa_dx10_clamp 1
		.amdhsa_ieee_mode 1
		.amdhsa_fp16_overflow 0
		.amdhsa_workgroup_processor_mode 1
		.amdhsa_memory_ordered 1
		.amdhsa_forward_progress 0
		.amdhsa_shared_vgpr_count 0
		.amdhsa_exception_fp_ieee_invalid_op 0
		.amdhsa_exception_fp_denorm_src 0
		.amdhsa_exception_fp_ieee_div_zero 0
		.amdhsa_exception_fp_ieee_overflow 0
		.amdhsa_exception_fp_ieee_underflow 0
		.amdhsa_exception_fp_ieee_inexact 0
		.amdhsa_exception_int_div_zero 0
	.end_amdhsa_kernel
	.text
.Lfunc_end1:
	.size	_Z5star2iPKdPd, .Lfunc_end1-_Z5star2iPKdPd
                                        ; -- End function
	.section	.AMDGPU.csdata,"",@progbits
; Kernel info:
; codeLenInByte = 496
; NumSgprs: 11
; NumVgprs: 21
; ScratchSize: 0
; MemoryBound: 0
; FloatMode: 240
; IeeeMode: 1
; LDSByteSize: 0 bytes/workgroup (compile time only)
; SGPRBlocks: 1
; VGPRBlocks: 2
; NumSGPRsForWavesPerEU: 11
; NumVGPRsForWavesPerEU: 21
; Occupancy: 16
; WaveLimiterHint : 0
; COMPUTE_PGM_RSRC2:SCRATCH_EN: 0
; COMPUTE_PGM_RSRC2:USER_SGPR: 6
; COMPUTE_PGM_RSRC2:TRAP_HANDLER: 0
; COMPUTE_PGM_RSRC2:TGID_X_EN: 1
; COMPUTE_PGM_RSRC2:TGID_Y_EN: 1
; COMPUTE_PGM_RSRC2:TGID_Z_EN: 0
; COMPUTE_PGM_RSRC2:TIDIG_COMP_CNT: 1
	.text
	.protected	_Z5star3iPKdPd          ; -- Begin function _Z5star3iPKdPd
	.globl	_Z5star3iPKdPd
	.p2align	8
	.type	_Z5star3iPKdPd,@function
_Z5star3iPKdPd:                         ; @_Z5star3iPKdPd
; %bb.0:
	s_clause 0x1
	s_load_dword s0, s[4:5], 0x24
	s_load_dword s8, s[4:5], 0x0
	s_waitcnt lgkmcnt(0)
	s_lshr_b32 s1, s0, 16
	s_and_b32 s0, s0, 0xffff
	v_mad_u64_u32 v[2:3], null, s6, s0, v[0:1]
	s_add_i32 s0, s8, -3
	v_mad_u64_u32 v[0:1], null, s7, s1, v[1:2]
	v_max_i32_e32 v1, v2, v0
	v_min_i32_e32 v3, v0, v2
	v_cmp_gt_i32_e32 vcc_lo, s0, v1
	v_cmp_lt_i32_e64 s0, 2, v3
	s_and_b32 s0, s0, vcc_lo
	s_and_saveexec_b32 s1, s0
	s_cbranch_execz .LBB2_2
; %bb.1:
	v_mul_lo_u32 v5, v2, s8
	s_load_dwordx4 s[0:3], s[4:5], 0x8
	v_ashrrev_i32_e32 v2, 31, v0
	s_mov_b32 s5, 0xbfc55555
	v_ashrrev_i32_e32 v3, 31, v5
	v_add_co_u32 v1, vcc_lo, v0, v5
	v_add_nc_u32_e32 v11, v5, v0
	v_add_co_ci_u32_e32 v2, vcc_lo, v2, v3, vcc_lo
	v_mad_u64_u32 v[5:6], null, s8, -3, v[11:12]
	v_lshlrev_b64 v[1:2], 3, v[1:2]
	v_ashrrev_i32_e32 v12, 31, v11
	v_lshlrev_b64 v[11:12], 3, v[11:12]
	s_waitcnt lgkmcnt(0)
	v_add_co_u32 v9, vcc_lo, s0, v1
	v_add_co_ci_u32_e32 v10, vcc_lo, s1, v2, vcc_lo
	v_ashrrev_i32_e32 v6, 31, v5
	s_clause 0x1
	global_load_dwordx4 v[1:4], v[9:10], off offset:-24
	global_load_dwordx2 v[13:14], v[9:10], off offset:-8
	v_lshlrev_b64 v[6:7], 3, v[5:6]
	v_add_nc_u32_e32 v5, s8, v5
	v_add_co_u32 v6, vcc_lo, s0, v6
	v_add_co_ci_u32_e32 v7, vcc_lo, s1, v7, vcc_lo
	global_load_dwordx2 v[15:16], v[6:7], off
	v_ashrrev_i32_e32 v6, 31, v5
	v_lshlrev_b64 v[6:7], 3, v[5:6]
	v_add_nc_u32_e32 v5, s8, v5
	v_add_co_u32 v6, vcc_lo, s0, v6
	v_add_co_ci_u32_e32 v7, vcc_lo, s1, v7, vcc_lo
	global_load_dwordx2 v[17:18], v[6:7], off
	v_ashrrev_i32_e32 v6, 31, v5
	v_lshlrev_b64 v[6:7], 3, v[5:6]
	v_lshl_add_u32 v5, s8, 1, v5
	v_add_co_u32 v6, vcc_lo, s0, v6
	v_add_co_ci_u32_e32 v7, vcc_lo, s1, v7, vcc_lo
	global_load_dwordx2 v[19:20], v[6:7], off
	v_ashrrev_i32_e32 v6, 31, v5
	v_lshlrev_b64 v[6:7], 3, v[5:6]
	v_add_nc_u32_e32 v5, s8, v5
	v_add_co_u32 v6, vcc_lo, s0, v6
	v_add_co_ci_u32_e32 v7, vcc_lo, s1, v7, vcc_lo
	global_load_dwordx2 v[21:22], v[6:7], off
	v_ashrrev_i32_e32 v6, 31, v5
	v_lshlrev_b64 v[6:7], 3, v[5:6]
	v_add_nc_u32_e32 v5, s8, v5
	v_add_co_u32 v6, vcc_lo, s0, v6
	v_add_co_ci_u32_e32 v7, vcc_lo, s1, v7, vcc_lo
	global_load_dwordx2 v[23:24], v[6:7], off
	v_ashrrev_i32_e32 v6, 31, v5
	v_lshlrev_b64 v[5:6], 3, v[5:6]
	v_add_co_u32 v5, vcc_lo, s0, v5
	v_add_co_ci_u32_e32 v6, vcc_lo, s1, v6, vcc_lo
	s_clause 0x2
	global_load_dwordx2 v[25:26], v[5:6], off
	global_load_dwordx4 v[5:8], v[9:10], off offset:8
	global_load_dwordx2 v[9:10], v[9:10], off offset:24
	v_add_co_u32 v11, vcc_lo, s2, v11
	v_add_co_ci_u32_e32 v12, vcc_lo, s3, v12, vcc_lo
	s_mov_b32 s1, 0xbfb55555
	s_mov_b32 s0, 0x55555555
	;; [unrolled: 1-line block ×3, first 2 shown]
	global_load_dwordx2 v[27:28], v[11:12], off
	s_mov_b32 s2, 0x1c71c71c
	s_mov_b32 s4, s0
	s_waitcnt vmcnt(10)
	v_mul_f64 v[3:4], v[3:4], s[0:1]
	v_fma_f64 v[0:1], v[1:2], s[2:3], v[3:4]
	s_waitcnt vmcnt(9)
	v_fma_f64 v[0:1], v[13:14], s[4:5], v[0:1]
	s_waitcnt vmcnt(8)
	v_fma_f64 v[0:1], v[15:16], s[2:3], v[0:1]
	s_mov_b32 s3, 0x3fac71c7
	s_waitcnt vmcnt(7)
	v_fma_f64 v[0:1], v[17:18], s[0:1], v[0:1]
	s_mov_b32 s1, 0x3fc55555
	;; [unrolled: 3-line block ×3, first 2 shown]
	s_waitcnt vmcnt(5)
	v_fma_f64 v[0:1], v[21:22], s[0:1], v[0:1]
	s_waitcnt vmcnt(4)
	v_fma_f64 v[0:1], v[23:24], s[4:5], v[0:1]
	;; [unrolled: 2-line block ×4, first 2 shown]
	v_fma_f64 v[0:1], v[7:8], s[4:5], v[0:1]
	s_waitcnt vmcnt(1)
	v_fma_f64 v[0:1], v[9:10], s[2:3], v[0:1]
	s_waitcnt vmcnt(0)
	v_add_f64 v[0:1], v[27:28], v[0:1]
	global_store_dwordx2 v[11:12], v[0:1], off
.LBB2_2:
	s_endpgm
	.section	.rodata,"a",@progbits
	.p2align	6, 0x0
	.amdhsa_kernel _Z5star3iPKdPd
		.amdhsa_group_segment_fixed_size 0
		.amdhsa_private_segment_fixed_size 0
		.amdhsa_kernarg_size 280
		.amdhsa_user_sgpr_count 6
		.amdhsa_user_sgpr_private_segment_buffer 1
		.amdhsa_user_sgpr_dispatch_ptr 0
		.amdhsa_user_sgpr_queue_ptr 0
		.amdhsa_user_sgpr_kernarg_segment_ptr 1
		.amdhsa_user_sgpr_dispatch_id 0
		.amdhsa_user_sgpr_flat_scratch_init 0
		.amdhsa_user_sgpr_private_segment_size 0
		.amdhsa_wavefront_size32 1
		.amdhsa_uses_dynamic_stack 0
		.amdhsa_system_sgpr_private_segment_wavefront_offset 0
		.amdhsa_system_sgpr_workgroup_id_x 1
		.amdhsa_system_sgpr_workgroup_id_y 1
		.amdhsa_system_sgpr_workgroup_id_z 0
		.amdhsa_system_sgpr_workgroup_info 0
		.amdhsa_system_vgpr_workitem_id 1
		.amdhsa_next_free_vgpr 29
		.amdhsa_next_free_sgpr 9
		.amdhsa_reserve_vcc 1
		.amdhsa_reserve_flat_scratch 0
		.amdhsa_float_round_mode_32 0
		.amdhsa_float_round_mode_16_64 0
		.amdhsa_float_denorm_mode_32 3
		.amdhsa_float_denorm_mode_16_64 3
		.amdhsa_dx10_clamp 1
		.amdhsa_ieee_mode 1
		.amdhsa_fp16_overflow 0
		.amdhsa_workgroup_processor_mode 1
		.amdhsa_memory_ordered 1
		.amdhsa_forward_progress 0
		.amdhsa_shared_vgpr_count 0
		.amdhsa_exception_fp_ieee_invalid_op 0
		.amdhsa_exception_fp_denorm_src 0
		.amdhsa_exception_fp_ieee_div_zero 0
		.amdhsa_exception_fp_ieee_overflow 0
		.amdhsa_exception_fp_ieee_underflow 0
		.amdhsa_exception_fp_ieee_inexact 0
		.amdhsa_exception_int_div_zero 0
	.end_amdhsa_kernel
	.text
.Lfunc_end2:
	.size	_Z5star3iPKdPd, .Lfunc_end2-_Z5star3iPKdPd
                                        ; -- End function
	.section	.AMDGPU.csdata,"",@progbits
; Kernel info:
; codeLenInByte = 676
; NumSgprs: 11
; NumVgprs: 29
; ScratchSize: 0
; MemoryBound: 0
; FloatMode: 240
; IeeeMode: 1
; LDSByteSize: 0 bytes/workgroup (compile time only)
; SGPRBlocks: 1
; VGPRBlocks: 3
; NumSGPRsForWavesPerEU: 11
; NumVGPRsForWavesPerEU: 29
; Occupancy: 16
; WaveLimiterHint : 0
; COMPUTE_PGM_RSRC2:SCRATCH_EN: 0
; COMPUTE_PGM_RSRC2:USER_SGPR: 6
; COMPUTE_PGM_RSRC2:TRAP_HANDLER: 0
; COMPUTE_PGM_RSRC2:TGID_X_EN: 1
; COMPUTE_PGM_RSRC2:TGID_Y_EN: 1
; COMPUTE_PGM_RSRC2:TGID_Z_EN: 0
; COMPUTE_PGM_RSRC2:TIDIG_COMP_CNT: 1
	.text
	.protected	_Z5star4iPKdPd          ; -- Begin function _Z5star4iPKdPd
	.globl	_Z5star4iPKdPd
	.p2align	8
	.type	_Z5star4iPKdPd,@function
_Z5star4iPKdPd:                         ; @_Z5star4iPKdPd
; %bb.0:
	s_clause 0x1
	s_load_dword s0, s[4:5], 0x24
	s_load_dword s8, s[4:5], 0x0
	s_waitcnt lgkmcnt(0)
	s_lshr_b32 s1, s0, 16
	s_and_b32 s0, s0, 0xffff
	v_mad_u64_u32 v[2:3], null, s6, s0, v[0:1]
	s_add_i32 s0, s8, -4
	v_mad_u64_u32 v[0:1], null, s7, s1, v[1:2]
	v_max_i32_e32 v1, v2, v0
	v_min_i32_e32 v3, v0, v2
	v_cmp_gt_i32_e32 vcc_lo, s0, v1
	v_cmp_lt_i32_e64 s0, 3, v3
	s_and_b32 s0, s0, vcc_lo
	s_and_saveexec_b32 s1, s0
	s_cbranch_execz .LBB3_2
; %bb.1:
	v_mul_lo_u32 v33, v2, s8
	s_load_dwordx4 s[0:3], s[4:5], 0x8
	v_ashrrev_i32_e32 v2, 31, v0
	s_lshl_b32 s4, s8, 2
	v_ashrrev_i32_e32 v3, 31, v33
	v_add_co_u32 v1, vcc_lo, v0, v33
	v_subrev_nc_u32_e32 v9, s4, v33
	v_add_nc_u32_e32 v33, v33, v0
	v_add_co_ci_u32_e32 v2, vcc_lo, v2, v3, vcc_lo
	v_add_nc_u32_e32 v9, v9, v0
	v_ashrrev_i32_e32 v34, 31, v33
	v_lshlrev_b64 v[1:2], 3, v[1:2]
	v_ashrrev_i32_e32 v10, 31, v9
	v_lshlrev_b64 v[33:34], 3, v[33:34]
	s_waitcnt lgkmcnt(0)
	v_add_co_u32 v13, vcc_lo, s0, v1
	v_add_co_ci_u32_e32 v14, vcc_lo, s1, v2, vcc_lo
	v_lshlrev_b64 v[10:11], 3, v[9:10]
	v_add_nc_u32_e32 v9, s8, v9
	s_clause 0x1
	global_load_dwordx4 v[1:4], v[13:14], off offset:-32
	global_load_dwordx4 v[5:8], v[13:14], off offset:-16
	v_add_co_u32 v10, vcc_lo, s0, v10
	v_add_co_ci_u32_e32 v11, vcc_lo, s1, v11, vcc_lo
	global_load_dwordx2 v[17:18], v[10:11], off
	v_ashrrev_i32_e32 v10, 31, v9
	v_lshlrev_b64 v[10:11], 3, v[9:10]
	v_add_nc_u32_e32 v9, s8, v9
	v_add_co_u32 v10, vcc_lo, s0, v10
	v_add_co_ci_u32_e32 v11, vcc_lo, s1, v11, vcc_lo
	global_load_dwordx2 v[19:20], v[10:11], off
	v_ashrrev_i32_e32 v10, 31, v9
	v_lshlrev_b64 v[10:11], 3, v[9:10]
	v_add_nc_u32_e32 v9, s8, v9
	v_add_co_u32 v10, vcc_lo, s0, v10
	v_add_co_ci_u32_e32 v11, vcc_lo, s1, v11, vcc_lo
	global_load_dwordx2 v[21:22], v[10:11], off
	v_ashrrev_i32_e32 v10, 31, v9
	v_lshlrev_b64 v[10:11], 3, v[9:10]
	v_lshl_add_u32 v9, s8, 1, v9
	v_add_co_u32 v10, vcc_lo, s0, v10
	v_add_co_ci_u32_e32 v11, vcc_lo, s1, v11, vcc_lo
	global_load_dwordx2 v[23:24], v[10:11], off
	v_ashrrev_i32_e32 v10, 31, v9
	v_lshlrev_b64 v[10:11], 3, v[9:10]
	v_add_nc_u32_e32 v9, s8, v9
	v_add_co_u32 v10, vcc_lo, s0, v10
	v_add_co_ci_u32_e32 v11, vcc_lo, s1, v11, vcc_lo
	global_load_dwordx2 v[25:26], v[10:11], off
	v_ashrrev_i32_e32 v10, 31, v9
	v_lshlrev_b64 v[10:11], 3, v[9:10]
	v_add_nc_u32_e32 v9, s8, v9
	v_add_co_u32 v10, vcc_lo, s0, v10
	v_add_co_ci_u32_e32 v11, vcc_lo, s1, v11, vcc_lo
	global_load_dwordx2 v[27:28], v[10:11], off
	v_ashrrev_i32_e32 v10, 31, v9
	v_lshlrev_b64 v[10:11], 3, v[9:10]
	v_add_nc_u32_e32 v9, s8, v9
	v_add_co_u32 v10, vcc_lo, s0, v10
	v_add_co_ci_u32_e32 v11, vcc_lo, s1, v11, vcc_lo
	global_load_dwordx2 v[29:30], v[10:11], off
	v_ashrrev_i32_e32 v10, 31, v9
	v_lshlrev_b64 v[9:10], 3, v[9:10]
	v_add_co_u32 v9, vcc_lo, s0, v9
	v_add_co_ci_u32_e32 v10, vcc_lo, s1, v10, vcc_lo
	s_clause 0x2
	global_load_dwordx2 v[31:32], v[9:10], off
	global_load_dwordx4 v[9:12], v[13:14], off offset:8
	global_load_dwordx4 v[13:16], v[13:14], off offset:24
	s_mov_b32 s1, 0xbfa55555
	s_mov_b32 s0, 0x55555555
	s_waitcnt vmcnt(11)
	v_mul_f64 v[3:4], v[3:4], s[0:1]
	v_fma_f64 v[0:1], 0xbfa00000, v[1:2], v[3:4]
	v_add_co_u32 v2, vcc_lo, s2, v33
	v_add_co_ci_u32_e32 v3, vcc_lo, s3, v34, vcc_lo
	global_load_dwordx2 v[33:34], v[2:3], off
	s_waitcnt vmcnt(11)
	v_fma_f64 v[0:1], 0xbfb00000, v[5:6], v[0:1]
	v_fma_f64 v[0:1], 0xbfc00000, v[7:8], v[0:1]
	s_waitcnt vmcnt(10)
	v_fma_f64 v[0:1], 0xbfa00000, v[17:18], v[0:1]
	s_waitcnt vmcnt(9)
	v_fma_f64 v[0:1], v[19:20], s[0:1], v[0:1]
	s_mov_b32 s1, 0x3fa55555
	s_waitcnt vmcnt(8)
	v_fma_f64 v[0:1], 0xbfb00000, v[21:22], v[0:1]
	s_waitcnt vmcnt(7)
	v_fma_f64 v[0:1], 0xbfc00000, v[23:24], v[0:1]
	;; [unrolled: 2-line block ×7, first 2 shown]
	v_fma_f64 v[0:1], 0x3fb00000, v[11:12], v[0:1]
	s_waitcnt vmcnt(1)
	v_fma_f64 v[0:1], v[13:14], s[0:1], v[0:1]
	v_fma_f64 v[0:1], 0x3fa00000, v[15:16], v[0:1]
	s_waitcnt vmcnt(0)
	v_add_f64 v[0:1], v[33:34], v[0:1]
	global_store_dwordx2 v[2:3], v[0:1], off
.LBB3_2:
	s_endpgm
	.section	.rodata,"a",@progbits
	.p2align	6, 0x0
	.amdhsa_kernel _Z5star4iPKdPd
		.amdhsa_group_segment_fixed_size 0
		.amdhsa_private_segment_fixed_size 0
		.amdhsa_kernarg_size 280
		.amdhsa_user_sgpr_count 6
		.amdhsa_user_sgpr_private_segment_buffer 1
		.amdhsa_user_sgpr_dispatch_ptr 0
		.amdhsa_user_sgpr_queue_ptr 0
		.amdhsa_user_sgpr_kernarg_segment_ptr 1
		.amdhsa_user_sgpr_dispatch_id 0
		.amdhsa_user_sgpr_flat_scratch_init 0
		.amdhsa_user_sgpr_private_segment_size 0
		.amdhsa_wavefront_size32 1
		.amdhsa_uses_dynamic_stack 0
		.amdhsa_system_sgpr_private_segment_wavefront_offset 0
		.amdhsa_system_sgpr_workgroup_id_x 1
		.amdhsa_system_sgpr_workgroup_id_y 1
		.amdhsa_system_sgpr_workgroup_id_z 0
		.amdhsa_system_sgpr_workgroup_info 0
		.amdhsa_system_vgpr_workitem_id 1
		.amdhsa_next_free_vgpr 35
		.amdhsa_next_free_sgpr 9
		.amdhsa_reserve_vcc 1
		.amdhsa_reserve_flat_scratch 0
		.amdhsa_float_round_mode_32 0
		.amdhsa_float_round_mode_16_64 0
		.amdhsa_float_denorm_mode_32 3
		.amdhsa_float_denorm_mode_16_64 3
		.amdhsa_dx10_clamp 1
		.amdhsa_ieee_mode 1
		.amdhsa_fp16_overflow 0
		.amdhsa_workgroup_processor_mode 1
		.amdhsa_memory_ordered 1
		.amdhsa_forward_progress 0
		.amdhsa_shared_vgpr_count 0
		.amdhsa_exception_fp_ieee_invalid_op 0
		.amdhsa_exception_fp_denorm_src 0
		.amdhsa_exception_fp_ieee_div_zero 0
		.amdhsa_exception_fp_ieee_overflow 0
		.amdhsa_exception_fp_ieee_underflow 0
		.amdhsa_exception_fp_ieee_inexact 0
		.amdhsa_exception_int_div_zero 0
	.end_amdhsa_kernel
	.text
.Lfunc_end3:
	.size	_Z5star4iPKdPd, .Lfunc_end3-_Z5star4iPKdPd
                                        ; -- End function
	.section	.AMDGPU.csdata,"",@progbits
; Kernel info:
; codeLenInByte = 796
; NumSgprs: 11
; NumVgprs: 35
; ScratchSize: 0
; MemoryBound: 0
; FloatMode: 240
; IeeeMode: 1
; LDSByteSize: 0 bytes/workgroup (compile time only)
; SGPRBlocks: 1
; VGPRBlocks: 4
; NumSGPRsForWavesPerEU: 11
; NumVGPRsForWavesPerEU: 35
; Occupancy: 16
; WaveLimiterHint : 0
; COMPUTE_PGM_RSRC2:SCRATCH_EN: 0
; COMPUTE_PGM_RSRC2:USER_SGPR: 6
; COMPUTE_PGM_RSRC2:TRAP_HANDLER: 0
; COMPUTE_PGM_RSRC2:TGID_X_EN: 1
; COMPUTE_PGM_RSRC2:TGID_Y_EN: 1
; COMPUTE_PGM_RSRC2:TGID_Z_EN: 0
; COMPUTE_PGM_RSRC2:TIDIG_COMP_CNT: 1
	.text
	.protected	_Z5star5iPKdPd          ; -- Begin function _Z5star5iPKdPd
	.globl	_Z5star5iPKdPd
	.p2align	8
	.type	_Z5star5iPKdPd,@function
_Z5star5iPKdPd:                         ; @_Z5star5iPKdPd
; %bb.0:
	s_clause 0x1
	s_load_dword s0, s[4:5], 0x24
	s_load_dword s8, s[4:5], 0x0
	s_waitcnt lgkmcnt(0)
	s_lshr_b32 s1, s0, 16
	s_and_b32 s0, s0, 0xffff
	v_mad_u64_u32 v[2:3], null, s6, s0, v[0:1]
	s_add_i32 s0, s8, -5
	v_mad_u64_u32 v[0:1], null, s7, s1, v[1:2]
	v_max_i32_e32 v1, v2, v0
	v_min_i32_e32 v3, v0, v2
	v_cmp_gt_i32_e32 vcc_lo, s0, v1
	v_cmp_lt_i32_e64 s0, 4, v3
	s_and_b32 s0, s0, vcc_lo
	s_and_saveexec_b32 s1, s0
	s_cbranch_execz .LBB4_2
; %bb.1:
	v_mul_lo_u32 v9, v2, s8
	s_load_dwordx4 s[0:3], s[4:5], 0x8
	v_ashrrev_i32_e32 v2, 31, v0
	s_mov_b32 s5, 0xbf947ae1
	s_mov_b32 s4, 0x47ae147b
	;; [unrolled: 1-line block ×5, first 2 shown]
	v_ashrrev_i32_e32 v3, 31, v9
	v_add_co_u32 v1, vcc_lo, v0, v9
	v_add_nc_u32_e32 v15, v9, v0
	s_mov_b32 s11, 0xbfb99999
	v_add_co_ci_u32_e32 v2, vcc_lo, v2, v3, vcc_lo
	v_mad_u64_u32 v[9:10], null, s8, -5, v[15:16]
	v_lshlrev_b64 v[1:2], 3, v[1:2]
	v_ashrrev_i32_e32 v10, 31, v9
	s_waitcnt lgkmcnt(0)
	v_add_co_u32 v13, vcc_lo, s0, v1
	v_add_co_ci_u32_e32 v14, vcc_lo, s1, v2, vcc_lo
	v_lshlrev_b64 v[10:11], 3, v[9:10]
	v_add_nc_u32_e32 v9, s8, v9
	s_clause 0x2
	global_load_dwordx4 v[1:4], v[13:14], off offset:-40
	global_load_dwordx4 v[5:8], v[13:14], off offset:-24
	global_load_dwordx2 v[16:17], v[13:14], off offset:-8
	v_add_co_u32 v10, vcc_lo, s0, v10
	v_add_co_ci_u32_e32 v11, vcc_lo, s1, v11, vcc_lo
	global_load_dwordx2 v[18:19], v[10:11], off
	v_ashrrev_i32_e32 v10, 31, v9
	v_lshlrev_b64 v[10:11], 3, v[9:10]
	v_add_nc_u32_e32 v9, s8, v9
	v_add_co_u32 v10, vcc_lo, s0, v10
	v_add_co_ci_u32_e32 v11, vcc_lo, s1, v11, vcc_lo
	global_load_dwordx2 v[20:21], v[10:11], off
	v_ashrrev_i32_e32 v10, 31, v9
	v_lshlrev_b64 v[10:11], 3, v[9:10]
	v_add_nc_u32_e32 v9, s8, v9
	;; [unrolled: 6-line block ×3, first 2 shown]
	v_add_co_u32 v10, vcc_lo, s0, v10
	v_add_co_ci_u32_e32 v11, vcc_lo, s1, v11, vcc_lo
	global_load_dwordx2 v[24:25], v[10:11], off
	v_ashrrev_i32_e32 v10, 31, v9
	v_lshlrev_b64 v[10:11], 3, v[9:10]
	v_lshl_add_u32 v9, s8, 1, v9
	v_add_co_u32 v10, vcc_lo, s0, v10
	v_add_co_ci_u32_e32 v11, vcc_lo, s1, v11, vcc_lo
	global_load_dwordx2 v[26:27], v[10:11], off
	v_ashrrev_i32_e32 v10, 31, v9
	v_lshlrev_b64 v[10:11], 3, v[9:10]
	v_add_nc_u32_e32 v9, s8, v9
	v_add_co_u32 v10, vcc_lo, s0, v10
	v_add_co_ci_u32_e32 v11, vcc_lo, s1, v11, vcc_lo
	global_load_dwordx2 v[28:29], v[10:11], off
	v_ashrrev_i32_e32 v10, 31, v9
	v_lshlrev_b64 v[10:11], 3, v[9:10]
	v_add_nc_u32_e32 v9, s8, v9
	;; [unrolled: 6-line block ×4, first 2 shown]
	v_add_co_u32 v10, vcc_lo, s0, v10
	v_add_co_ci_u32_e32 v11, vcc_lo, s1, v11, vcc_lo
	global_load_dwordx2 v[34:35], v[10:11], off
	v_ashrrev_i32_e32 v10, 31, v9
	v_lshlrev_b64 v[9:10], 3, v[9:10]
	v_add_co_u32 v9, vcc_lo, s0, v9
	v_add_co_ci_u32_e32 v10, vcc_lo, s1, v10, vcc_lo
	s_mov_b32 s1, 0xbf999999
	s_mov_b32 s0, 0x9999999a
	s_clause 0x1
	global_load_dwordx2 v[36:37], v[9:10], off
	global_load_dwordx4 v[9:12], v[13:14], off offset:8
	s_mov_b32 s8, s0
	s_mov_b32 s10, s0
	s_waitcnt vmcnt(13)
	v_mul_f64 v[3:4], v[3:4], s[0:1]
	v_fma_f64 v[0:1], v[1:2], s[4:5], v[3:4]
	s_waitcnt vmcnt(12)
	v_fma_f64 v[4:5], v[5:6], s[6:7], v[0:1]
	global_load_dwordx4 v[0:3], v[13:14], off offset:24
	v_fma_f64 v[4:5], v[7:8], s[8:9], v[4:5]
	global_load_dwordx2 v[6:7], v[13:14], off offset:40
	s_waitcnt vmcnt(13)
	v_fma_f64 v[4:5], v[16:17], s[10:11], v[4:5]
	v_ashrrev_i32_e32 v16, 31, v15
	v_lshlrev_b64 v[13:14], 3, v[15:16]
	v_add_co_u32 v13, vcc_lo, s2, v13
	v_add_co_ci_u32_e32 v14, vcc_lo, s3, v14, vcc_lo
	s_mov_b32 s3, 0x3fa99999
	s_mov_b32 s2, s0
	global_load_dwordx2 v[15:16], v[13:14], off
	s_waitcnt vmcnt(13)
	v_fma_f64 v[4:5], v[18:19], s[4:5], v[4:5]
	s_mov_b32 s5, 0x3f947ae1
	s_waitcnt vmcnt(12)
	v_fma_f64 v[4:5], v[20:21], s[0:1], v[4:5]
	s_mov_b32 s1, 0x3fb99999
	;; [unrolled: 3-line block ×4, first 2 shown]
	s_waitcnt vmcnt(9)
	v_fma_f64 v[4:5], v[26:27], s[10:11], v[4:5]
	s_waitcnt vmcnt(8)
	v_fma_f64 v[4:5], v[28:29], s[0:1], v[4:5]
	;; [unrolled: 2-line block ×7, first 2 shown]
	v_fma_f64 v[4:5], v[11:12], s[2:3], v[4:5]
	s_waitcnt vmcnt(2)
	v_fma_f64 v[0:1], v[0:1], s[6:7], v[4:5]
	v_fma_f64 v[0:1], v[2:3], s[8:9], v[0:1]
	s_waitcnt vmcnt(1)
	v_fma_f64 v[0:1], v[6:7], s[4:5], v[0:1]
	s_waitcnt vmcnt(0)
	v_add_f64 v[0:1], v[15:16], v[0:1]
	global_store_dwordx2 v[13:14], v[0:1], off
.LBB4_2:
	s_endpgm
	.section	.rodata,"a",@progbits
	.p2align	6, 0x0
	.amdhsa_kernel _Z5star5iPKdPd
		.amdhsa_group_segment_fixed_size 0
		.amdhsa_private_segment_fixed_size 0
		.amdhsa_kernarg_size 280
		.amdhsa_user_sgpr_count 6
		.amdhsa_user_sgpr_private_segment_buffer 1
		.amdhsa_user_sgpr_dispatch_ptr 0
		.amdhsa_user_sgpr_queue_ptr 0
		.amdhsa_user_sgpr_kernarg_segment_ptr 1
		.amdhsa_user_sgpr_dispatch_id 0
		.amdhsa_user_sgpr_flat_scratch_init 0
		.amdhsa_user_sgpr_private_segment_size 0
		.amdhsa_wavefront_size32 1
		.amdhsa_uses_dynamic_stack 0
		.amdhsa_system_sgpr_private_segment_wavefront_offset 0
		.amdhsa_system_sgpr_workgroup_id_x 1
		.amdhsa_system_sgpr_workgroup_id_y 1
		.amdhsa_system_sgpr_workgroup_id_z 0
		.amdhsa_system_sgpr_workgroup_info 0
		.amdhsa_system_vgpr_workitem_id 1
		.amdhsa_next_free_vgpr 38
		.amdhsa_next_free_sgpr 12
		.amdhsa_reserve_vcc 1
		.amdhsa_reserve_flat_scratch 0
		.amdhsa_float_round_mode_32 0
		.amdhsa_float_round_mode_16_64 0
		.amdhsa_float_denorm_mode_32 3
		.amdhsa_float_denorm_mode_16_64 3
		.amdhsa_dx10_clamp 1
		.amdhsa_ieee_mode 1
		.amdhsa_fp16_overflow 0
		.amdhsa_workgroup_processor_mode 1
		.amdhsa_memory_ordered 1
		.amdhsa_forward_progress 0
		.amdhsa_shared_vgpr_count 0
		.amdhsa_exception_fp_ieee_invalid_op 0
		.amdhsa_exception_fp_denorm_src 0
		.amdhsa_exception_fp_ieee_div_zero 0
		.amdhsa_exception_fp_ieee_overflow 0
		.amdhsa_exception_fp_ieee_underflow 0
		.amdhsa_exception_fp_ieee_inexact 0
		.amdhsa_exception_int_div_zero 0
	.end_amdhsa_kernel
	.text
.Lfunc_end4:
	.size	_Z5star5iPKdPd, .Lfunc_end4-_Z5star5iPKdPd
                                        ; -- End function
	.section	.AMDGPU.csdata,"",@progbits
; Kernel info:
; codeLenInByte = 972
; NumSgprs: 14
; NumVgprs: 38
; ScratchSize: 0
; MemoryBound: 0
; FloatMode: 240
; IeeeMode: 1
; LDSByteSize: 0 bytes/workgroup (compile time only)
; SGPRBlocks: 1
; VGPRBlocks: 4
; NumSGPRsForWavesPerEU: 14
; NumVGPRsForWavesPerEU: 38
; Occupancy: 16
; WaveLimiterHint : 0
; COMPUTE_PGM_RSRC2:SCRATCH_EN: 0
; COMPUTE_PGM_RSRC2:USER_SGPR: 6
; COMPUTE_PGM_RSRC2:TRAP_HANDLER: 0
; COMPUTE_PGM_RSRC2:TGID_X_EN: 1
; COMPUTE_PGM_RSRC2:TGID_Y_EN: 1
; COMPUTE_PGM_RSRC2:TGID_Z_EN: 0
; COMPUTE_PGM_RSRC2:TIDIG_COMP_CNT: 1
	.text
	.protected	_Z5grid1iPKdPd          ; -- Begin function _Z5grid1iPKdPd
	.globl	_Z5grid1iPKdPd
	.p2align	8
	.type	_Z5grid1iPKdPd,@function
_Z5grid1iPKdPd:                         ; @_Z5grid1iPKdPd
; %bb.0:
	s_clause 0x1
	s_load_dword s0, s[4:5], 0x24
	s_load_dword s8, s[4:5], 0x0
	s_waitcnt lgkmcnt(0)
	s_lshr_b32 s1, s0, 16
	s_and_b32 s0, s0, 0xffff
	v_mad_u64_u32 v[2:3], null, s6, s0, v[0:1]
	s_add_i32 s0, s8, -1
	v_mad_u64_u32 v[0:1], null, s7, s1, v[1:2]
	v_max_i32_e32 v1, v2, v0
	v_min_i32_e32 v3, v0, v2
	v_cmp_gt_i32_e32 vcc_lo, s0, v1
	v_cmp_lt_i32_e64 s0, 0, v3
	s_and_b32 s0, s0, vcc_lo
	s_and_saveexec_b32 s1, s0
	s_cbranch_execz .LBB5_2
; %bb.1:
	v_mul_lo_u32 v12, v2, s8
	s_load_dwordx4 s[0:3], s[4:5], 0x8
	v_ashrrev_i32_e32 v8, 31, v0
	v_add_nc_u32_e32 v5, -1, v2
	v_ashrrev_i32_e32 v1, 31, v12
	v_add_co_u32 v3, vcc_lo, v0, v12
	v_add_co_ci_u32_e32 v4, vcc_lo, v8, v1, vcc_lo
	v_lshlrev_b64 v[1:2], 3, v[3:4]
	v_mul_lo_u32 v3, v5, s8
	s_waitcnt lgkmcnt(0)
	v_add_co_u32 v4, vcc_lo, s0, v1
	v_add_co_ci_u32_e32 v5, vcc_lo, s1, v2, vcc_lo
	v_ashrrev_i32_e32 v2, 31, v3
	v_add_co_u32 v1, vcc_lo, v3, v0
	global_load_dwordx2 v[6:7], v[4:5], off offset:-8
	v_add_co_ci_u32_e32 v2, vcc_lo, v2, v8, vcc_lo
	v_add_nc_u32_e32 v8, v3, v0
	v_lshlrev_b64 v[1:2], 3, v[1:2]
	v_ashrrev_i32_e32 v9, 31, v8
	v_add_co_u32 v1, vcc_lo, s0, v1
	v_add_co_ci_u32_e32 v2, vcc_lo, s1, v2, vcc_lo
	global_load_dwordx2 v[10:11], v[1:2], off offset:-8
	v_lshlrev_b64 v[1:2], 3, v[8:9]
	v_add_nc_u32_e32 v8, v12, v0
	v_ashrrev_i32_e32 v9, 31, v8
	v_add_co_u32 v0, vcc_lo, s0, v1
	v_add_co_ci_u32_e32 v1, vcc_lo, s1, v2, vcc_lo
	v_add_nc_u32_e32 v2, s8, v8
	v_lshlrev_b64 v[8:9], 3, v[8:9]
	global_load_dwordx2 v[12:13], v[0:1], off
	v_ashrrev_i32_e32 v3, 31, v2
	v_lshlrev_b64 v[0:1], 3, v[2:3]
	v_add_co_u32 v0, vcc_lo, s0, v0
	v_add_co_ci_u32_e32 v1, vcc_lo, s1, v1, vcc_lo
	s_clause 0x1
	global_load_dwordx4 v[0:3], v[0:1], off
	global_load_dwordx2 v[4:5], v[4:5], off offset:8
	v_add_co_u32 v8, vcc_lo, s2, v8
	v_add_co_ci_u32_e32 v9, vcc_lo, s3, v9, vcc_lo
	global_load_dwordx2 v[14:15], v[8:9], off
	s_waitcnt vmcnt(5)
	v_ldexp_f64 v[6:7], -v[6:7], -2
	s_waitcnt vmcnt(4)
	v_fma_f64 v[6:7], 0xbfd00000, v[10:11], v[6:7]
	s_waitcnt vmcnt(3)
	v_fma_f64 v[6:7], 0xbfd00000, v[12:13], v[6:7]
	s_waitcnt vmcnt(2)
	v_fma_f64 v[0:1], 0x3fd00000, v[0:1], v[6:7]
	s_waitcnt vmcnt(1)
	v_fma_f64 v[0:1], 0x3fd00000, v[4:5], v[0:1]
	v_fma_f64 v[0:1], 0x3fd00000, v[2:3], v[0:1]
	s_waitcnt vmcnt(0)
	v_add_f64 v[0:1], v[14:15], v[0:1]
	global_store_dwordx2 v[8:9], v[0:1], off
.LBB5_2:
	s_endpgm
	.section	.rodata,"a",@progbits
	.p2align	6, 0x0
	.amdhsa_kernel _Z5grid1iPKdPd
		.amdhsa_group_segment_fixed_size 0
		.amdhsa_private_segment_fixed_size 0
		.amdhsa_kernarg_size 280
		.amdhsa_user_sgpr_count 6
		.amdhsa_user_sgpr_private_segment_buffer 1
		.amdhsa_user_sgpr_dispatch_ptr 0
		.amdhsa_user_sgpr_queue_ptr 0
		.amdhsa_user_sgpr_kernarg_segment_ptr 1
		.amdhsa_user_sgpr_dispatch_id 0
		.amdhsa_user_sgpr_flat_scratch_init 0
		.amdhsa_user_sgpr_private_segment_size 0
		.amdhsa_wavefront_size32 1
		.amdhsa_uses_dynamic_stack 0
		.amdhsa_system_sgpr_private_segment_wavefront_offset 0
		.amdhsa_system_sgpr_workgroup_id_x 1
		.amdhsa_system_sgpr_workgroup_id_y 1
		.amdhsa_system_sgpr_workgroup_id_z 0
		.amdhsa_system_sgpr_workgroup_info 0
		.amdhsa_system_vgpr_workitem_id 1
		.amdhsa_next_free_vgpr 16
		.amdhsa_next_free_sgpr 9
		.amdhsa_reserve_vcc 1
		.amdhsa_reserve_flat_scratch 0
		.amdhsa_float_round_mode_32 0
		.amdhsa_float_round_mode_16_64 0
		.amdhsa_float_denorm_mode_32 3
		.amdhsa_float_denorm_mode_16_64 3
		.amdhsa_dx10_clamp 1
		.amdhsa_ieee_mode 1
		.amdhsa_fp16_overflow 0
		.amdhsa_workgroup_processor_mode 1
		.amdhsa_memory_ordered 1
		.amdhsa_forward_progress 0
		.amdhsa_shared_vgpr_count 0
		.amdhsa_exception_fp_ieee_invalid_op 0
		.amdhsa_exception_fp_denorm_src 0
		.amdhsa_exception_fp_ieee_div_zero 0
		.amdhsa_exception_fp_ieee_overflow 0
		.amdhsa_exception_fp_ieee_underflow 0
		.amdhsa_exception_fp_ieee_inexact 0
		.amdhsa_exception_int_div_zero 0
	.end_amdhsa_kernel
	.text
.Lfunc_end5:
	.size	_Z5grid1iPKdPd, .Lfunc_end5-_Z5grid1iPKdPd
                                        ; -- End function
	.section	.AMDGPU.csdata,"",@progbits
; Kernel info:
; codeLenInByte = 444
; NumSgprs: 11
; NumVgprs: 16
; ScratchSize: 0
; MemoryBound: 0
; FloatMode: 240
; IeeeMode: 1
; LDSByteSize: 0 bytes/workgroup (compile time only)
; SGPRBlocks: 1
; VGPRBlocks: 1
; NumSGPRsForWavesPerEU: 11
; NumVGPRsForWavesPerEU: 16
; Occupancy: 16
; WaveLimiterHint : 0
; COMPUTE_PGM_RSRC2:SCRATCH_EN: 0
; COMPUTE_PGM_RSRC2:USER_SGPR: 6
; COMPUTE_PGM_RSRC2:TRAP_HANDLER: 0
; COMPUTE_PGM_RSRC2:TGID_X_EN: 1
; COMPUTE_PGM_RSRC2:TGID_Y_EN: 1
; COMPUTE_PGM_RSRC2:TGID_Z_EN: 0
; COMPUTE_PGM_RSRC2:TIDIG_COMP_CNT: 1
	.text
	.protected	_Z5grid2iPKdPd          ; -- Begin function _Z5grid2iPKdPd
	.globl	_Z5grid2iPKdPd
	.p2align	8
	.type	_Z5grid2iPKdPd,@function
_Z5grid2iPKdPd:                         ; @_Z5grid2iPKdPd
; %bb.0:
	s_clause 0x1
	s_load_dword s0, s[4:5], 0x24
	s_load_dword s8, s[4:5], 0x0
	s_waitcnt lgkmcnt(0)
	s_lshr_b32 s1, s0, 16
	s_and_b32 s0, s0, 0xffff
	v_mad_u64_u32 v[2:3], null, s6, s0, v[0:1]
	s_add_i32 s0, s8, -2
	v_mad_u64_u32 v[0:1], null, s7, s1, v[1:2]
	v_max_i32_e32 v1, v2, v0
	v_min_i32_e32 v3, v0, v2
	v_cmp_gt_i32_e32 vcc_lo, s0, v1
	v_cmp_lt_i32_e64 s0, 1, v3
	s_and_b32 s0, s0, vcc_lo
	s_and_saveexec_b32 s1, s0
	s_cbranch_execz .LBB6_2
; %bb.1:
	v_add_nc_u32_e32 v1, -2, v2
	s_load_dwordx4 s[0:3], s[4:5], 0x8
	v_ashrrev_i32_e32 v18, 31, v0
	v_mul_lo_u32 v43, v2, s8
	v_mul_lo_u32 v17, v1, s8
	v_ashrrev_i32_e32 v11, 31, v43
	v_add_nc_u32_e32 v21, s8, v43
	v_add_nc_u32_e32 v19, s8, v17
	v_ashrrev_i32_e32 v16, 31, v21
	v_ashrrev_i32_e32 v1, 31, v19
	v_add_co_u32 v3, vcc_lo, v19, v0
	v_add_nc_u32_e32 v22, s8, v21
	v_add_nc_u32_e32 v19, v19, v0
	v_add_co_ci_u32_e32 v4, vcc_lo, v1, v18, vcc_lo
	v_ashrrev_i32_e32 v1, 31, v17
	v_add_nc_u32_e32 v23, v22, v0
	v_ashrrev_i32_e32 v20, 31, v19
	v_lshlrev_b64 v[3:4], 3, v[3:4]
	v_ashrrev_i32_e32 v24, 31, v23
	v_lshlrev_b64 v[19:20], 3, v[19:20]
	s_waitcnt lgkmcnt(0)
	v_add_co_u32 v3, vcc_lo, s0, v3
	v_add_co_ci_u32_e32 v4, vcc_lo, s1, v4, vcc_lo
	v_add_co_u32 v7, vcc_lo, v17, v0
	v_add_co_ci_u32_e32 v8, vcc_lo, v1, v18, vcc_lo
	global_load_dwordx4 v[3:6], v[3:4], off offset:-16
	v_add_nc_u32_e32 v17, v17, v0
	v_lshlrev_b64 v[23:24], 3, v[23:24]
	v_lshlrev_b64 v[7:8], 3, v[7:8]
	v_add_co_u32 v1, vcc_lo, s0, v7
	v_add_co_ci_u32_e32 v2, vcc_lo, s1, v8, vcc_lo
	global_load_dwordx4 v[7:10], v[1:2], off offset:-16
	v_add_co_u32 v1, vcc_lo, v0, v43
	v_add_co_ci_u32_e32 v2, vcc_lo, v18, v11, vcc_lo
	v_lshlrev_b64 v[1:2], 3, v[1:2]
	v_add_co_u32 v1, vcc_lo, s0, v1
	v_add_co_ci_u32_e32 v2, vcc_lo, s1, v2, vcc_lo
	v_add_co_u32 v15, vcc_lo, v21, v0
	v_add_co_ci_u32_e32 v16, vcc_lo, v16, v18, vcc_lo
	global_load_dwordx4 v[11:14], v[1:2], off offset:-16
	v_lshlrev_b64 v[15:16], 3, v[15:16]
	v_add_co_u32 v15, vcc_lo, s0, v15
	v_add_co_ci_u32_e32 v16, vcc_lo, s1, v16, vcc_lo
	global_load_dwordx2 v[31:32], v[15:16], off offset:-16
	v_ashrrev_i32_e32 v16, 31, v22
	v_add_co_u32 v15, vcc_lo, v22, v0
	v_add_co_ci_u32_e32 v16, vcc_lo, v16, v18, vcc_lo
	v_ashrrev_i32_e32 v18, 31, v17
	v_lshlrev_b64 v[15:16], 3, v[15:16]
	v_add_co_u32 v15, vcc_lo, s0, v15
	v_add_co_ci_u32_e32 v16, vcc_lo, s1, v16, vcc_lo
	global_load_dwordx2 v[33:34], v[15:16], off offset:-8
	v_lshlrev_b64 v[15:16], 3, v[17:18]
	v_add_co_u32 v15, vcc_lo, s0, v15
	v_add_co_ci_u32_e32 v16, vcc_lo, s1, v16, vcc_lo
	v_add_co_u32 v35, vcc_lo, s0, v19
	v_add_co_ci_u32_e32 v36, vcc_lo, s1, v20, vcc_lo
	global_load_dwordx4 v[15:18], v[15:16], off
	v_add_nc_u32_e32 v19, v21, v0
	global_load_dwordx2 v[37:38], v[35:36], off
	v_ashrrev_i32_e32 v20, 31, v19
	v_lshlrev_b64 v[19:20], 3, v[19:20]
	v_add_co_u32 v39, vcc_lo, s0, v19
	v_add_co_ci_u32_e32 v40, vcc_lo, s1, v20, vcc_lo
	v_add_co_u32 v41, vcc_lo, s0, v23
	v_add_co_ci_u32_e32 v42, vcc_lo, s1, v24, vcc_lo
	s_clause 0x2
	global_load_dwordx4 v[19:22], v[39:40], off
	global_load_dwordx4 v[23:26], v[41:42], off
	global_load_dwordx4 v[27:30], v[1:2], off offset:8
	s_mov_b32 s0, 0x55555555
	s_mov_b32 s1, 0xbf955555
	s_waitcnt vmcnt(9)
	v_mul_f64 v[1:2], v[3:4], s[0:1]
	global_load_dwordx2 v[3:4], v[35:36], off offset:16
	s_waitcnt vmcnt(9)
	v_fma_f64 v[1:2], 0xbfb00000, v[7:8], v[1:2]
	global_load_dwordx2 v[7:8], v[39:40], off offset:16
	s_waitcnt vmcnt(9)
	v_fma_f64 v[1:2], v[11:12], s[0:1], v[1:2]
	;; [unrolled: 3-line block ×3, first 2 shown]
	v_fma_f64 v[1:2], v[9:10], s[0:1], v[1:2]
	v_add_nc_u32_e32 v9, v43, v0
	v_ashrrev_i32_e32 v10, 31, v9
	v_lshlrev_b64 v[9:10], 3, v[9:10]
	v_fma_f64 v[0:1], 0xbfc00000, v[5:6], v[1:2]
	v_add_co_u32 v5, vcc_lo, s2, v9
	v_add_co_ci_u32_e32 v6, vcc_lo, s3, v10, vcc_lo
	s_mov_b32 s3, 0x3f955555
	s_mov_b32 s2, s0
	global_load_dwordx2 v[9:10], v[5:6], off
	v_fma_f64 v[0:1], 0xbfc00000, v[13:14], v[0:1]
	s_waitcnt vmcnt(9)
	v_fma_f64 v[0:1], v[33:34], s[2:3], v[0:1]
	s_waitcnt vmcnt(8)
	;; [unrolled: 2-line block ×5, first 2 shown]
	v_fma_f64 v[0:1], v[23:24], s[2:3], v[0:1]
	v_fma_f64 v[0:1], v[17:18], s[0:1], v[0:1]
	s_waitcnt vmcnt(4)
	v_fma_f64 v[0:1], 0x3fc00000, v[27:28], v[0:1]
	v_fma_f64 v[0:1], 0x3fc00000, v[21:22], v[0:1]
	;; [unrolled: 1-line block ×3, first 2 shown]
	s_waitcnt vmcnt(3)
	v_fma_f64 v[0:1], v[3:4], s[2:3], v[0:1]
	v_fma_f64 v[0:1], v[29:30], s[2:3], v[0:1]
	s_waitcnt vmcnt(2)
	v_fma_f64 v[0:1], v[7:8], s[2:3], v[0:1]
	s_waitcnt vmcnt(1)
	;; [unrolled: 2-line block ×3, first 2 shown]
	v_add_f64 v[0:1], v[9:10], v[0:1]
	global_store_dwordx2 v[5:6], v[0:1], off
.LBB6_2:
	s_endpgm
	.section	.rodata,"a",@progbits
	.p2align	6, 0x0
	.amdhsa_kernel _Z5grid2iPKdPd
		.amdhsa_group_segment_fixed_size 0
		.amdhsa_private_segment_fixed_size 0
		.amdhsa_kernarg_size 280
		.amdhsa_user_sgpr_count 6
		.amdhsa_user_sgpr_private_segment_buffer 1
		.amdhsa_user_sgpr_dispatch_ptr 0
		.amdhsa_user_sgpr_queue_ptr 0
		.amdhsa_user_sgpr_kernarg_segment_ptr 1
		.amdhsa_user_sgpr_dispatch_id 0
		.amdhsa_user_sgpr_flat_scratch_init 0
		.amdhsa_user_sgpr_private_segment_size 0
		.amdhsa_wavefront_size32 1
		.amdhsa_uses_dynamic_stack 0
		.amdhsa_system_sgpr_private_segment_wavefront_offset 0
		.amdhsa_system_sgpr_workgroup_id_x 1
		.amdhsa_system_sgpr_workgroup_id_y 1
		.amdhsa_system_sgpr_workgroup_id_z 0
		.amdhsa_system_sgpr_workgroup_info 0
		.amdhsa_system_vgpr_workitem_id 1
		.amdhsa_next_free_vgpr 44
		.amdhsa_next_free_sgpr 9
		.amdhsa_reserve_vcc 1
		.amdhsa_reserve_flat_scratch 0
		.amdhsa_float_round_mode_32 0
		.amdhsa_float_round_mode_16_64 0
		.amdhsa_float_denorm_mode_32 3
		.amdhsa_float_denorm_mode_16_64 3
		.amdhsa_dx10_clamp 1
		.amdhsa_ieee_mode 1
		.amdhsa_fp16_overflow 0
		.amdhsa_workgroup_processor_mode 1
		.amdhsa_memory_ordered 1
		.amdhsa_forward_progress 0
		.amdhsa_shared_vgpr_count 0
		.amdhsa_exception_fp_ieee_invalid_op 0
		.amdhsa_exception_fp_denorm_src 0
		.amdhsa_exception_fp_ieee_div_zero 0
		.amdhsa_exception_fp_ieee_overflow 0
		.amdhsa_exception_fp_ieee_underflow 0
		.amdhsa_exception_fp_ieee_inexact 0
		.amdhsa_exception_int_div_zero 0
	.end_amdhsa_kernel
	.text
.Lfunc_end6:
	.size	_Z5grid2iPKdPd, .Lfunc_end6-_Z5grid2iPKdPd
                                        ; -- End function
	.section	.AMDGPU.csdata,"",@progbits
; Kernel info:
; codeLenInByte = 868
; NumSgprs: 11
; NumVgprs: 44
; ScratchSize: 0
; MemoryBound: 0
; FloatMode: 240
; IeeeMode: 1
; LDSByteSize: 0 bytes/workgroup (compile time only)
; SGPRBlocks: 1
; VGPRBlocks: 5
; NumSGPRsForWavesPerEU: 11
; NumVGPRsForWavesPerEU: 44
; Occupancy: 16
; WaveLimiterHint : 0
; COMPUTE_PGM_RSRC2:SCRATCH_EN: 0
; COMPUTE_PGM_RSRC2:USER_SGPR: 6
; COMPUTE_PGM_RSRC2:TRAP_HANDLER: 0
; COMPUTE_PGM_RSRC2:TGID_X_EN: 1
; COMPUTE_PGM_RSRC2:TGID_Y_EN: 1
; COMPUTE_PGM_RSRC2:TGID_Z_EN: 0
; COMPUTE_PGM_RSRC2:TIDIG_COMP_CNT: 1
	.text
	.protected	_Z5grid3iPKdPd          ; -- Begin function _Z5grid3iPKdPd
	.globl	_Z5grid3iPKdPd
	.p2align	8
	.type	_Z5grid3iPKdPd,@function
_Z5grid3iPKdPd:                         ; @_Z5grid3iPKdPd
; %bb.0:
	s_clause 0x1
	s_load_dword s0, s[4:5], 0x24
	s_load_dword s8, s[4:5], 0x0
	s_waitcnt lgkmcnt(0)
	s_lshr_b32 s1, s0, 16
	s_and_b32 s0, s0, 0xffff
	v_mad_u64_u32 v[12:13], null, s7, s1, v[1:2]
	v_mad_u64_u32 v[8:9], null, s6, s0, v[0:1]
	s_add_i32 s0, s8, -3
	v_max_i32_e32 v0, v8, v12
	v_min_i32_e32 v1, v12, v8
	v_cmp_gt_i32_e32 vcc_lo, s0, v0
	v_cmp_lt_i32_e64 s0, 2, v1
	s_and_b32 s0, s0, vcc_lo
	s_and_saveexec_b32 s1, s0
	s_cbranch_execz .LBB7_2
; %bb.1:
	v_add_nc_u32_e32 v0, -3, v8
	s_load_dwordx4 s[0:3], s[4:5], 0x8
	v_ashrrev_i32_e32 v26, 31, v12
	v_mul_lo_u32 v15, v8, s8
	s_mov_b32 s6, 0x16c16c17
	v_mul_lo_u32 v44, v0, s8
	s_mov_b32 s7, 0xbf76c16c
	s_mov_b32 s5, 0xbf9c71c7
	;; [unrolled: 1-line block ×5, first 2 shown]
	v_ashrrev_i32_e32 v14, 31, v15
	v_add_nc_u32_e32 v48, s8, v15
	v_add_nc_u32_e32 v46, s8, v44
	v_ashrrev_i32_e32 v5, 31, v44
	s_mov_b32 s10, s4
	v_ashrrev_i32_e32 v21, 31, v48
	v_ashrrev_i32_e32 v1, 31, v46
	v_add_co_u32 v0, vcc_lo, v46, v12
	v_add_nc_u32_e32 v47, s8, v46
	v_add_nc_u32_e32 v49, s8, v48
	v_add_co_ci_u32_e32 v1, vcc_lo, v1, v26, vcc_lo
	v_ashrrev_i32_e32 v10, 31, v47
	v_ashrrev_i32_e32 v25, 31, v49
	v_lshlrev_b64 v[0:1], 3, v[0:1]
	v_add_nc_u32_e32 v50, s8, v49
	s_mov_b32 s8, s6
	s_waitcnt lgkmcnt(0)
	v_add_co_u32 v28, vcc_lo, s0, v0
	v_add_co_ci_u32_e32 v29, vcc_lo, s1, v1, vcc_lo
	v_add_co_u32 v4, vcc_lo, v44, v12
	v_add_co_ci_u32_e32 v5, vcc_lo, v5, v26, vcc_lo
	global_load_dwordx4 v[0:3], v[28:29], off offset:-24
	v_lshlrev_b64 v[4:5], 3, v[4:5]
	v_add_co_u32 v30, vcc_lo, s0, v4
	v_add_co_ci_u32_e32 v31, vcc_lo, s1, v5, vcc_lo
	v_add_co_u32 v9, vcc_lo, v47, v12
	v_add_co_ci_u32_e32 v10, vcc_lo, v10, v26, vcc_lo
	global_load_dwordx4 v[4:7], v[30:31], off offset:-24
	v_lshlrev_b64 v[9:10], 3, v[9:10]
	;; [unrolled: 6-line block ×5, first 2 shown]
	v_add_co_u32 v34, vcc_lo, s0, v24
	v_add_co_ci_u32_e32 v35, vcc_lo, s1, v25, vcc_lo
	v_ashrrev_i32_e32 v25, 31, v50
	v_add_co_u32 v24, vcc_lo, v50, v12
	global_load_dwordx2 v[36:37], v[34:35], off offset:-24
	v_add_co_ci_u32_e32 v25, vcc_lo, v25, v26, vcc_lo
	v_lshlrev_b64 v[24:25], 3, v[24:25]
	v_add_co_u32 v24, vcc_lo, s0, v24
	v_add_co_ci_u32_e32 v25, vcc_lo, s1, v25, vcc_lo
	s_clause 0x5
	global_load_dwordx4 v[24:27], v[24:25], off offset:-16
	global_load_dwordx2 v[38:39], v[30:31], off offset:-8
	global_load_dwordx2 v[40:41], v[28:29], off offset:-8
	;; [unrolled: 1-line block ×5, first 2 shown]
	s_waitcnt vmcnt(11)
	v_mul_f64 v[0:1], v[0:1], s[6:7]
	s_waitcnt vmcnt(10)
	v_fma_f64 v[0:1], v[4:5], s[4:5], v[0:1]
	v_add_nc_u32_e32 v4, v44, v12
	s_mov_b32 s5, 0xbf8c71c7
	v_ashrrev_i32_e32 v5, 31, v4
	v_lshlrev_b64 v[4:5], 3, v[4:5]
	v_add_co_u32 v44, vcc_lo, s0, v4
	v_add_co_ci_u32_e32 v45, vcc_lo, s1, v5, vcc_lo
	v_add_nc_u32_e32 v4, v46, v12
	s_waitcnt vmcnt(9)
	v_fma_f64 v[0:1], v[8:9], s[6:7], v[0:1]
	v_add_nc_u32_e32 v8, v48, v12
	global_load_dwordx4 v[28:31], v[44:45], off
	v_add_nc_u32_e32 v46, v50, v12
	v_ashrrev_i32_e32 v5, 31, v4
	v_ashrrev_i32_e32 v9, 31, v8
	v_lshlrev_b64 v[4:5], 3, v[4:5]
	v_lshlrev_b64 v[8:9], 3, v[8:9]
	s_waitcnt vmcnt(9)
	v_fma_f64 v[0:1], v[16:17], s[6:7], v[0:1]
	v_add_nc_u32_e32 v16, v49, v12
	v_ashrrev_i32_e32 v17, 31, v16
	v_lshlrev_b64 v[16:17], 3, v[16:17]
	s_waitcnt vmcnt(8)
	v_fma_f64 v[0:1], v[20:21], s[6:7], v[0:1]
	v_add_nc_u32_e32 v20, v47, v12
	v_ashrrev_i32_e32 v47, 31, v46
	v_ashrrev_i32_e32 v21, 31, v20
	s_waitcnt vmcnt(7)
	v_fma_f64 v[0:1], v[36:37], s[6:7], v[0:1]
	v_add_co_u32 v36, vcc_lo, s0, v4
	v_add_co_ci_u32_e32 v37, vcc_lo, s1, v5, vcc_lo
	v_add_co_u32 v48, vcc_lo, s0, v8
	v_add_co_ci_u32_e32 v49, vcc_lo, s1, v9, vcc_lo
	v_lshlrev_b64 v[8:9], 3, v[20:21]
	v_lshlrev_b64 v[20:21], 3, v[46:47]
	v_add_co_u32 v46, vcc_lo, s0, v16
	v_add_co_ci_u32_e32 v47, vcc_lo, s1, v17, vcc_lo
	v_add_co_u32 v50, vcc_lo, s0, v8
	v_add_co_ci_u32_e32 v51, vcc_lo, s1, v9, vcc_lo
	;; [unrolled: 2-line block ×3, first 2 shown]
	v_fma_f64 v[0:1], v[6:7], s[6:7], v[0:1]
	s_clause 0x1
	global_load_dwordx4 v[4:7], v[36:37], off
	global_load_dwordx2 v[54:55], v[50:51], off
	s_mov_b32 s1, 0xbfa55555
	s_mov_b32 s0, 0x55555555
	global_load_dwordx2 v[44:45], v[44:45], off offset:16
	v_fma_f64 v[8:9], v[2:3], s[0:1], v[0:1]
	global_load_dwordx4 v[0:3], v[48:49], off
	s_mov_b32 s1, 0xbfb55555
	v_fma_f64 v[16:17], v[10:11], s[4:5], v[8:9]
	global_load_dwordx4 v[8:11], v[46:47], off
	v_fma_f64 v[20:21], v[18:19], s[4:5], v[16:17]
	global_load_dwordx4 v[16:19], v[52:53], off
	v_fma_f64 v[20:21], v[22:23], s[4:5], v[20:21]
	s_waitcnt vmcnt(12)
	v_fma_f64 v[24:25], v[24:25], s[8:9], v[20:21]
	global_load_dwordx4 v[20:23], v[13:14], off offset:8
	s_waitcnt vmcnt(12)
	v_fma_f64 v[24:25], v[38:39], s[6:7], v[24:25]
	s_waitcnt vmcnt(11)
	v_fma_f64 v[24:25], v[40:41], s[4:5], v[24:25]
	;; [unrolled: 2-line block ×4, first 2 shown]
	v_fma_f64 v[24:25], v[34:35], s[10:11], v[24:25]
	global_load_dwordx4 v[32:35], v[50:51], off offset:16
	v_fma_f64 v[24:25], v[26:27], s[8:9], v[24:25]
	s_waitcnt vmcnt(8)
	v_fma_f64 v[28:29], v[28:29], s[6:7], v[24:25]
	s_clause 0x3
	global_load_dwordx4 v[24:27], v[48:49], off offset:16
	global_load_dwordx2 v[48:49], v[36:37], off offset:24
	global_load_dwordx4 v[36:39], v[46:47], off offset:16
	global_load_dwordx4 v[40:43], v[52:53], off offset:16
	s_waitcnt vmcnt(11)
	v_fma_f64 v[4:5], v[4:5], s[4:5], v[28:29]
	s_waitcnt vmcnt(10)
	v_fma_f64 v[4:5], v[54:55], s[0:1], v[4:5]
	s_mov_b32 s1, 0x3fb55555
	s_waitcnt vmcnt(8)
	v_fma_f64 v[0:1], v[0:1], s[0:1], v[4:5]
	global_load_dwordx2 v[4:5], v[13:14], off offset:24
	s_waitcnt vmcnt(8)
	v_fma_f64 v[0:1], v[8:9], s[10:11], v[0:1]
	s_waitcnt vmcnt(7)
	v_fma_f64 v[0:1], v[16:17], s[8:9], v[0:1]
	v_fma_f64 v[0:1], v[30:31], s[6:7], v[0:1]
	;; [unrolled: 1-line block ×3, first 2 shown]
	v_add_nc_u32_e32 v6, v15, v12
	s_mov_b32 s5, 0x3f9c71c7
	v_ashrrev_i32_e32 v7, 31, v6
	v_lshlrev_b64 v[6:7], 3, v[6:7]
	s_waitcnt vmcnt(6)
	v_fma_f64 v[0:1], v[20:21], s[0:1], v[0:1]
	v_fma_f64 v[0:1], v[2:3], s[0:1], v[0:1]
	v_add_co_u32 v2, vcc_lo, s2, v6
	v_add_co_ci_u32_e32 v3, vcc_lo, s3, v7, vcc_lo
	s_mov_b32 s1, 0x3fa55555
	global_load_dwordx2 v[6:7], v[2:3], off
	v_fma_f64 v[0:1], v[10:11], s[10:11], v[0:1]
	v_fma_f64 v[0:1], v[18:19], s[8:9], v[0:1]
	;; [unrolled: 1-line block ×3, first 2 shown]
	s_waitcnt vmcnt(6)
	v_fma_f64 v[0:1], v[32:33], s[10:11], v[0:1]
	v_fma_f64 v[0:1], v[22:23], s[10:11], v[0:1]
	s_waitcnt vmcnt(5)
	v_fma_f64 v[0:1], v[24:25], s[10:11], v[0:1]
	s_waitcnt vmcnt(3)
	;; [unrolled: 2-line block ×3, first 2 shown]
	v_fma_f64 v[0:1], v[40:41], s[8:9], v[0:1]
	v_fma_f64 v[0:1], v[48:49], s[8:9], v[0:1]
	;; [unrolled: 1-line block ×3, first 2 shown]
	s_waitcnt vmcnt(1)
	v_fma_f64 v[0:1], v[4:5], s[8:9], v[0:1]
	v_fma_f64 v[0:1], v[26:27], s[8:9], v[0:1]
	;; [unrolled: 1-line block ×4, first 2 shown]
	s_waitcnt vmcnt(0)
	v_add_f64 v[0:1], v[6:7], v[0:1]
	global_store_dwordx2 v[2:3], v[0:1], off
.LBB7_2:
	s_endpgm
	.section	.rodata,"a",@progbits
	.p2align	6, 0x0
	.amdhsa_kernel _Z5grid3iPKdPd
		.amdhsa_group_segment_fixed_size 0
		.amdhsa_private_segment_fixed_size 0
		.amdhsa_kernarg_size 280
		.amdhsa_user_sgpr_count 6
		.amdhsa_user_sgpr_private_segment_buffer 1
		.amdhsa_user_sgpr_dispatch_ptr 0
		.amdhsa_user_sgpr_queue_ptr 0
		.amdhsa_user_sgpr_kernarg_segment_ptr 1
		.amdhsa_user_sgpr_dispatch_id 0
		.amdhsa_user_sgpr_flat_scratch_init 0
		.amdhsa_user_sgpr_private_segment_size 0
		.amdhsa_wavefront_size32 1
		.amdhsa_uses_dynamic_stack 0
		.amdhsa_system_sgpr_private_segment_wavefront_offset 0
		.amdhsa_system_sgpr_workgroup_id_x 1
		.amdhsa_system_sgpr_workgroup_id_y 1
		.amdhsa_system_sgpr_workgroup_id_z 0
		.amdhsa_system_sgpr_workgroup_info 0
		.amdhsa_system_vgpr_workitem_id 1
		.amdhsa_next_free_vgpr 56
		.amdhsa_next_free_sgpr 12
		.amdhsa_reserve_vcc 1
		.amdhsa_reserve_flat_scratch 0
		.amdhsa_float_round_mode_32 0
		.amdhsa_float_round_mode_16_64 0
		.amdhsa_float_denorm_mode_32 3
		.amdhsa_float_denorm_mode_16_64 3
		.amdhsa_dx10_clamp 1
		.amdhsa_ieee_mode 1
		.amdhsa_fp16_overflow 0
		.amdhsa_workgroup_processor_mode 1
		.amdhsa_memory_ordered 1
		.amdhsa_forward_progress 0
		.amdhsa_shared_vgpr_count 0
		.amdhsa_exception_fp_ieee_invalid_op 0
		.amdhsa_exception_fp_denorm_src 0
		.amdhsa_exception_fp_ieee_div_zero 0
		.amdhsa_exception_fp_ieee_overflow 0
		.amdhsa_exception_fp_ieee_underflow 0
		.amdhsa_exception_fp_ieee_inexact 0
		.amdhsa_exception_int_div_zero 0
	.end_amdhsa_kernel
	.text
.Lfunc_end7:
	.size	_Z5grid3iPKdPd, .Lfunc_end7-_Z5grid3iPKdPd
                                        ; -- End function
	.section	.AMDGPU.csdata,"",@progbits
; Kernel info:
; codeLenInByte = 1384
; NumSgprs: 14
; NumVgprs: 56
; ScratchSize: 0
; MemoryBound: 0
; FloatMode: 240
; IeeeMode: 1
; LDSByteSize: 0 bytes/workgroup (compile time only)
; SGPRBlocks: 1
; VGPRBlocks: 6
; NumSGPRsForWavesPerEU: 14
; NumVGPRsForWavesPerEU: 56
; Occupancy: 16
; WaveLimiterHint : 0
; COMPUTE_PGM_RSRC2:SCRATCH_EN: 0
; COMPUTE_PGM_RSRC2:USER_SGPR: 6
; COMPUTE_PGM_RSRC2:TRAP_HANDLER: 0
; COMPUTE_PGM_RSRC2:TGID_X_EN: 1
; COMPUTE_PGM_RSRC2:TGID_Y_EN: 1
; COMPUTE_PGM_RSRC2:TGID_Z_EN: 0
; COMPUTE_PGM_RSRC2:TIDIG_COMP_CNT: 1
	.text
	.protected	_Z5grid4iPKdPd          ; -- Begin function _Z5grid4iPKdPd
	.globl	_Z5grid4iPKdPd
	.p2align	8
	.type	_Z5grid4iPKdPd,@function
_Z5grid4iPKdPd:                         ; @_Z5grid4iPKdPd
; %bb.0:
	s_clause 0x1
	s_load_dword s0, s[4:5], 0x24
	s_load_dword s8, s[4:5], 0x0
	s_waitcnt lgkmcnt(0)
	s_lshr_b32 s1, s0, 16
	s_and_b32 s0, s0, 0xffff
	v_mad_u64_u32 v[4:5], null, s7, s1, v[1:2]
	v_mad_u64_u32 v[6:7], null, s6, s0, v[0:1]
	s_add_i32 s0, s8, -4
	v_max_i32_e32 v0, v6, v4
	v_min_i32_e32 v1, v4, v6
	v_cmp_gt_i32_e32 vcc_lo, s0, v0
	v_cmp_lt_i32_e64 s0, 3, v1
	s_and_b32 s0, s0, vcc_lo
	s_and_saveexec_b32 s1, s0
	s_cbranch_execz .LBB8_2
; %bb.1:
	v_add_nc_u32_e32 v0, -4, v6
	s_load_dwordx4 s[0:3], s[4:5], 0x8
	v_ashrrev_i32_e32 v18, 31, v4
	v_mul_lo_u32 v11, v6, s8
	s_mov_b32 s4, 0x92492492
	v_mul_lo_u32 v12, v0, s8
	s_mov_b32 s5, 0xbf624924
	s_mov_b32 s7, 0xbf955555
	;; [unrolled: 1-line block ×5, first 2 shown]
	v_ashrrev_i32_e32 v6, 31, v11
	v_add_nc_u32_e32 v19, s8, v11
	v_add_nc_u32_e32 v13, s8, v12
	v_ashrrev_i32_e32 v5, 31, v12
	s_mov_b32 s9, 0x3f624924
	s_mov_b32 s13, 0x3f711111
	s_mov_b32 s12, s10
	v_ashrrev_i32_e32 v1, 31, v13
	v_add_co_u32 v0, vcc_lo, v13, v4
	v_add_nc_u32_e32 v14, s8, v13
	s_mov_b32 s15, 0x3f855555
	v_add_co_ci_u32_e32 v1, vcc_lo, v1, v18, vcc_lo
	s_mov_b32 s14, s6
	v_lshlrev_b64 v[0:1], 3, v[0:1]
	s_waitcnt lgkmcnt(0)
	v_add_co_u32 v7, vcc_lo, s0, v0
	v_add_co_ci_u32_e32 v8, vcc_lo, s1, v1, vcc_lo
	v_add_co_u32 v9, vcc_lo, v12, v4
	v_add_co_ci_u32_e32 v10, vcc_lo, v5, v18, vcc_lo
	global_load_dwordx4 v[0:3], v[7:8], off offset:-32
	v_ashrrev_i32_e32 v5, 31, v14
	v_lshlrev_b64 v[9:10], 3, v[9:10]
	v_add_co_u32 v9, vcc_lo, s0, v9
	v_add_co_ci_u32_e32 v10, vcc_lo, s1, v10, vcc_lo
	v_add_co_u32 v15, vcc_lo, v14, v4
	v_add_co_ci_u32_e32 v16, vcc_lo, v5, v18, vcc_lo
	global_load_dwordx4 v[20:23], v[9:10], off offset:-32
	v_lshlrev_b64 v[16:17], 3, v[15:16]
	v_add_nc_u32_e32 v15, s8, v14
	v_ashrrev_i32_e32 v5, 31, v15
	v_add_co_u32 v52, vcc_lo, s0, v16
	v_add_co_ci_u32_e32 v53, vcc_lo, s1, v17, vcc_lo
	v_add_co_u32 v16, vcc_lo, v15, v4
	v_add_co_ci_u32_e32 v17, vcc_lo, v5, v18, vcc_lo
	global_load_dwordx4 v[24:27], v[52:53], off offset:-32
	v_lshlrev_b64 v[16:17], 3, v[16:17]
	v_add_co_u32 v54, vcc_lo, s0, v16
	v_add_co_ci_u32_e32 v55, vcc_lo, s1, v17, vcc_lo
	v_add_co_u32 v5, vcc_lo, v4, v11
	v_add_co_ci_u32_e32 v6, vcc_lo, v18, v6, vcc_lo
	global_load_dwordx4 v[28:31], v[54:55], off offset:-32
	v_ashrrev_i32_e32 v17, 31, v19
	v_lshlrev_b64 v[5:6], 3, v[5:6]
	v_add_co_u32 v5, vcc_lo, s0, v5
	v_add_co_ci_u32_e32 v6, vcc_lo, s1, v6, vcc_lo
	v_add_co_u32 v16, vcc_lo, v19, v4
	v_add_co_ci_u32_e32 v17, vcc_lo, v17, v18, vcc_lo
	global_load_dwordx4 v[32:35], v[5:6], off offset:-32
	v_lshlrev_b64 v[36:37], 3, v[16:17]
	v_add_nc_u32_e32 v17, s8, v19
	v_add_co_u32 v56, vcc_lo, s0, v36
	v_add_co_ci_u32_e32 v57, vcc_lo, s1, v37, vcc_lo
	v_ashrrev_i32_e32 v16, 31, v17
	v_add_co_u32 v40, vcc_lo, v17, v4
	global_load_dwordx4 v[36:39], v[56:57], off offset:-32
	v_add_co_ci_u32_e32 v41, vcc_lo, v16, v18, vcc_lo
	v_add_nc_u32_e32 v16, s8, v17
	v_add_nc_u32_e32 v17, v17, v4
	v_lshlrev_b64 v[40:41], 3, v[40:41]
	v_ashrrev_i32_e32 v47, 31, v16
	v_add_nc_u32_e32 v58, s8, v16
	s_mov_b32 s8, s4
	v_add_co_u32 v44, vcc_lo, s0, v40
	v_add_co_ci_u32_e32 v45, vcc_lo, s1, v41, vcc_lo
	v_add_co_u32 v46, vcc_lo, v16, v4
	v_add_co_ci_u32_e32 v47, vcc_lo, v47, v18, vcc_lo
	global_load_dwordx4 v[40:43], v[44:45], off offset:-32
	v_lshlrev_b64 v[46:47], 3, v[46:47]
	v_add_co_u32 v46, vcc_lo, s0, v46
	v_add_co_ci_u32_e32 v47, vcc_lo, s1, v47, vcc_lo
	global_load_dwordx2 v[48:49], v[46:47], off offset:-32
	s_waitcnt vmcnt(7)
	v_mul_f64 v[0:1], v[0:1], s[4:5]
	s_waitcnt vmcnt(6)
	v_fma_f64 v[0:1], 0xbf900000, v[20:21], v[0:1]
	v_ashrrev_i32_e32 v21, 31, v58
	v_add_co_u32 v20, vcc_lo, v58, v4
	v_add_co_ci_u32_e32 v21, vcc_lo, v21, v18, vcc_lo
	v_add_nc_u32_e32 v18, v19, v4
	v_lshlrev_b64 v[20:21], 3, v[20:21]
	v_ashrrev_i32_e32 v19, 31, v18
	v_lshlrev_b64 v[18:19], 3, v[18:19]
	s_waitcnt vmcnt(5)
	v_fma_f64 v[0:1], v[24:25], s[4:5], v[0:1]
	s_waitcnt vmcnt(4)
	v_fma_f64 v[0:1], v[28:29], s[4:5], v[0:1]
	;; [unrolled: 2-line block ×4, first 2 shown]
	s_clause 0x1
	global_load_dwordx2 v[36:37], v[44:45], off offset:-8
	global_load_dwordx4 v[44:47], v[46:47], off offset:-16
	s_waitcnt vmcnt(3)
	v_fma_f64 v[0:1], v[40:41], s[4:5], v[0:1]
	v_add_co_u32 v40, vcc_lo, s0, v20
	v_add_co_ci_u32_e32 v41, vcc_lo, s1, v21, vcc_lo
	s_waitcnt vmcnt(2)
	v_fma_f64 v[0:1], v[48:49], s[4:5], v[0:1]
	v_fma_f64 v[0:1], v[22:23], s[4:5], v[0:1]
	s_clause 0x1
	global_load_dwordx4 v[20:23], v[40:41], off offset:-24
	global_load_dwordx4 v[48:51], v[9:10], off offset:-16
	v_fma_f64 v[0:1], v[2:3], s[6:7], v[0:1]
	s_mov_b32 s7, 0xbf855555
	v_fma_f64 v[0:1], v[26:27], s[10:11], v[0:1]
	s_clause 0x1
	global_load_dwordx4 v[7:10], v[7:8], off offset:-16
	global_load_dwordx4 v[24:27], v[52:53], off offset:-16
	v_fma_f64 v[0:1], v[30:31], s[10:11], v[0:1]
	global_load_dwordx4 v[28:31], v[54:55], off offset:-16
	v_fma_f64 v[0:1], v[34:35], s[10:11], v[0:1]
	s_clause 0x1
	global_load_dwordx4 v[32:35], v[5:6], off offset:-16
	global_load_dwordx2 v[2:3], v[56:57], off offset:-16
	v_fma_f64 v[0:1], v[38:39], s[10:11], v[0:1]
	global_load_dwordx2 v[38:39], v[40:41], off offset:-8
	v_fma_f64 v[0:1], v[42:43], s[10:11], v[0:1]
	s_waitcnt vmcnt(7)
	v_fma_f64 v[0:1], v[20:21], s[8:9], v[0:1]
	v_add_nc_u32_e32 v20, v14, v4
	v_add_nc_u32_e32 v14, v15, v4
	v_ashrrev_i32_e32 v21, 31, v20
	v_ashrrev_i32_e32 v15, 31, v14
	v_lshlrev_b64 v[20:21], 3, v[20:21]
	s_waitcnt vmcnt(6)
	v_fma_f64 v[0:1], v[48:49], s[4:5], v[0:1]
	s_waitcnt vmcnt(5)
	v_fma_f64 v[0:1], v[7:8], s[10:11], v[0:1]
	v_add_nc_u32_e32 v7, v12, v4
	v_add_nc_u32_e32 v12, v13, v4
	v_ashrrev_i32_e32 v8, 31, v7
	v_ashrrev_i32_e32 v13, 31, v12
	v_lshlrev_b64 v[7:8], 3, v[7:8]
	v_lshlrev_b64 v[12:13], 3, v[12:13]
	v_add_co_u32 v7, vcc_lo, s0, v7
	v_add_co_ci_u32_e32 v8, vcc_lo, s1, v8, vcc_lo
	v_add_co_u32 v48, vcc_lo, s0, v12
	s_waitcnt vmcnt(4)
	v_fma_f64 v[0:1], 0xbfa00000, v[24:25], v[0:1]
	v_add_co_ci_u32_e32 v49, vcc_lo, s1, v13, vcc_lo
	v_lshlrev_b64 v[12:13], 3, v[14:15]
	s_waitcnt vmcnt(3)
	v_fma_f64 v[0:1], v[28:29], s[6:7], v[0:1]
	v_add_nc_u32_e32 v28, v16, v4
	v_ashrrev_i32_e32 v29, 31, v28
	v_lshlrev_b64 v[28:29], 3, v[28:29]
	s_waitcnt vmcnt(2)
	v_fma_f64 v[0:1], v[32:33], s[6:7], v[0:1]
	v_add_nc_u32_e32 v32, v58, v4
	v_ashrrev_i32_e32 v33, 31, v32
	v_lshlrev_b64 v[32:33], 3, v[32:33]
	s_waitcnt vmcnt(1)
	v_fma_f64 v[24:25], v[2:3], s[6:7], v[0:1]
	global_load_dwordx4 v[0:3], v[7:8], off
	v_add_co_u32 v40, vcc_lo, s0, v20
	v_add_co_ci_u32_e32 v41, vcc_lo, s1, v21, vcc_lo
	v_add_co_u32 v52, vcc_lo, s0, v12
	v_add_co_ci_u32_e32 v53, vcc_lo, s1, v13, vcc_lo
	s_clause 0x1
	global_load_dwordx4 v[12:15], v[48:49], off
	global_load_dwordx2 v[42:43], v[52:53], off
	v_fma_f64 v[20:21], v[44:45], s[12:13], v[24:25]
	v_add_co_u32 v44, vcc_lo, s0, v18
	v_add_co_ci_u32_e32 v45, vcc_lo, s1, v19, vcc_lo
	v_ashrrev_i32_e32 v18, 31, v17
	v_lshlrev_b64 v[17:18], 3, v[17:18]
	v_fma_f64 v[24:25], v[22:23], s[8:9], v[20:21]
	global_load_dwordx4 v[20:23], v[40:41], off
	v_fma_f64 v[24:25], v[50:51], s[4:5], v[24:25]
	v_add_co_u32 v50, vcc_lo, s0, v17
	v_add_co_ci_u32_e32 v51, vcc_lo, s1, v18, vcc_lo
	v_add_co_u32 v54, vcc_lo, s0, v28
	v_add_co_ci_u32_e32 v55, vcc_lo, s1, v29, vcc_lo
	global_load_dwordx4 v[16:19], v[50:51], off
	v_add_co_u32 v56, vcc_lo, s0, v32
	v_add_co_ci_u32_e32 v57, vcc_lo, s1, v33, vcc_lo
	v_fma_f64 v[9:10], v[9:10], s[10:11], v[24:25]
	v_fma_f64 v[9:10], v[26:27], s[6:7], v[9:10]
	global_load_dwordx4 v[24:27], v[44:45], off
	v_fma_f64 v[9:10], 0xbfb00000, v[30:31], v[9:10]
	global_load_dwordx4 v[28:31], v[54:55], off
	;; [unrolled: 2-line block ×3, first 2 shown]
	v_fma_f64 v[9:10], v[36:37], s[14:15], v[9:10]
	v_fma_f64 v[9:10], v[46:47], s[12:13], v[9:10]
	global_load_dwordx2 v[46:47], v[48:49], off offset:32
	s_waitcnt vmcnt(9)
	v_fma_f64 v[9:10], v[38:39], s[8:9], v[9:10]
	global_load_dwordx4 v[36:39], v[40:41], off offset:24
	s_waitcnt vmcnt(9)
	v_fma_f64 v[0:1], v[0:1], s[4:5], v[9:10]
	s_waitcnt vmcnt(8)
	v_fma_f64 v[0:1], v[12:13], s[10:11], v[0:1]
	;; [unrolled: 2-line block ×3, first 2 shown]
	v_fma_f64 v[0:1], 0xbfb00000, v[42:43], v[0:1]
	global_load_dwordx4 v[40:43], v[5:6], off offset:8
	s_waitcnt vmcnt(5)
	v_fma_f64 v[0:1], 0x3fb00000, v[24:25], v[0:1]
	v_fma_f64 v[0:1], v[16:17], s[14:15], v[0:1]
	s_waitcnt vmcnt(4)
	v_fma_f64 v[0:1], v[28:29], s[12:13], v[0:1]
	s_waitcnt vmcnt(3)
	v_fma_f64 v[0:1], v[32:33], s[8:9], v[0:1]
	v_fma_f64 v[9:10], v[2:3], s[4:5], v[0:1]
	s_clause 0x1
	global_load_dwordx4 v[0:3], v[7:8], off offset:16
	global_load_dwordx2 v[32:33], v[48:49], off offset:16
	v_fma_f64 v[12:13], v[14:15], s[10:11], v[9:10]
	global_load_dwordx4 v[7:10], v[52:53], off offset:16
	v_fma_f64 v[12:13], v[22:23], s[6:7], v[12:13]
	s_mov_b32 s7, 0x3f955555
	global_load_dwordx4 v[20:23], v[50:51], off offset:16
	s_waitcnt vmcnt(4)
	v_fma_f64 v[16:17], 0x3fb00000, v[40:41], v[12:13]
	global_load_dwordx4 v[12:15], v[44:45], off offset:16
	v_fma_f64 v[16:17], 0x3fb00000, v[26:27], v[16:17]
	v_fma_f64 v[24:25], v[18:19], s[14:15], v[16:17]
	global_load_dwordx4 v[16:19], v[54:55], off offset:16
	v_fma_f64 v[40:41], v[30:31], s[12:13], v[24:25]
	s_clause 0x1
	global_load_dwordx4 v[24:27], v[56:57], off offset:16
	global_load_dwordx4 v[28:31], v[5:6], off offset:24
	v_fma_f64 v[5:6], v[34:35], s[8:9], v[40:41]
	s_waitcnt vmcnt(7)
	v_fma_f64 v[0:1], v[0:1], s[4:5], v[5:6]
	global_load_dwordx2 v[5:6], v[52:53], off offset:32
	s_waitcnt vmcnt(7)
	v_fma_f64 v[0:1], v[32:33], s[10:11], v[0:1]
	s_waitcnt vmcnt(6)
	v_fma_f64 v[0:1], v[7:8], s[14:15], v[0:1]
	global_load_dwordx2 v[7:8], v[44:45], off offset:32
	v_fma_f64 v[0:1], v[42:43], s[14:15], v[0:1]
	s_waitcnt vmcnt(5)
	v_fma_f64 v[0:1], v[12:13], s[14:15], v[0:1]
	v_fma_f64 v[0:1], 0x3fa00000, v[20:21], v[0:1]
	global_load_dwordx2 v[20:21], v[56:57], off offset:32
	s_waitcnt vmcnt(5)
	v_fma_f64 v[0:1], v[16:17], s[12:13], v[0:1]
	s_clause 0x1
	global_load_dwordx2 v[16:17], v[54:55], off offset:32
	global_load_dwordx2 v[12:13], v[50:51], off offset:32
	s_waitcnt vmcnt(6)
	v_fma_f64 v[0:1], v[24:25], s[8:9], v[0:1]
	v_fma_f64 v[0:1], v[2:3], s[4:5], v[0:1]
	v_add_nc_u32_e32 v2, v11, v4
	v_ashrrev_i32_e32 v3, 31, v2
	v_lshlrev_b64 v[2:3], 3, v[2:3]
	v_add_co_u32 v2, vcc_lo, s2, v2
	v_add_co_ci_u32_e32 v3, vcc_lo, s3, v3, vcc_lo
	v_fma_f64 v[0:1], v[36:37], s[12:13], v[0:1]
	global_load_dwordx2 v[24:25], v[2:3], off
	v_fma_f64 v[0:1], v[9:10], s[12:13], v[0:1]
	s_waitcnt vmcnt(6)
	v_fma_f64 v[0:1], v[28:29], s[12:13], v[0:1]
	v_fma_f64 v[0:1], v[14:15], s[12:13], v[0:1]
	;; [unrolled: 1-line block ×7, first 2 shown]
	s_waitcnt vmcnt(5)
	v_fma_f64 v[0:1], v[5:6], s[8:9], v[0:1]
	v_fma_f64 v[0:1], v[30:31], s[8:9], v[0:1]
	s_waitcnt vmcnt(4)
	v_fma_f64 v[0:1], v[7:8], s[8:9], v[0:1]
	s_waitcnt vmcnt(1)
	v_fma_f64 v[0:1], v[12:13], s[8:9], v[0:1]
	v_fma_f64 v[0:1], v[16:17], s[8:9], v[0:1]
	;; [unrolled: 1-line block ×3, first 2 shown]
	s_waitcnt vmcnt(0)
	v_add_f64 v[0:1], v[24:25], v[0:1]
	global_store_dwordx2 v[2:3], v[0:1], off
.LBB8_2:
	s_endpgm
	.section	.rodata,"a",@progbits
	.p2align	6, 0x0
	.amdhsa_kernel _Z5grid4iPKdPd
		.amdhsa_group_segment_fixed_size 0
		.amdhsa_private_segment_fixed_size 0
		.amdhsa_kernarg_size 280
		.amdhsa_user_sgpr_count 6
		.amdhsa_user_sgpr_private_segment_buffer 1
		.amdhsa_user_sgpr_dispatch_ptr 0
		.amdhsa_user_sgpr_queue_ptr 0
		.amdhsa_user_sgpr_kernarg_segment_ptr 1
		.amdhsa_user_sgpr_dispatch_id 0
		.amdhsa_user_sgpr_flat_scratch_init 0
		.amdhsa_user_sgpr_private_segment_size 0
		.amdhsa_wavefront_size32 1
		.amdhsa_uses_dynamic_stack 0
		.amdhsa_system_sgpr_private_segment_wavefront_offset 0
		.amdhsa_system_sgpr_workgroup_id_x 1
		.amdhsa_system_sgpr_workgroup_id_y 1
		.amdhsa_system_sgpr_workgroup_id_z 0
		.amdhsa_system_sgpr_workgroup_info 0
		.amdhsa_system_vgpr_workitem_id 1
		.amdhsa_next_free_vgpr 59
		.amdhsa_next_free_sgpr 16
		.amdhsa_reserve_vcc 1
		.amdhsa_reserve_flat_scratch 0
		.amdhsa_float_round_mode_32 0
		.amdhsa_float_round_mode_16_64 0
		.amdhsa_float_denorm_mode_32 3
		.amdhsa_float_denorm_mode_16_64 3
		.amdhsa_dx10_clamp 1
		.amdhsa_ieee_mode 1
		.amdhsa_fp16_overflow 0
		.amdhsa_workgroup_processor_mode 1
		.amdhsa_memory_ordered 1
		.amdhsa_forward_progress 0
		.amdhsa_shared_vgpr_count 0
		.amdhsa_exception_fp_ieee_invalid_op 0
		.amdhsa_exception_fp_denorm_src 0
		.amdhsa_exception_fp_ieee_div_zero 0
		.amdhsa_exception_fp_ieee_overflow 0
		.amdhsa_exception_fp_ieee_underflow 0
		.amdhsa_exception_fp_ieee_inexact 0
		.amdhsa_exception_int_div_zero 0
	.end_amdhsa_kernel
	.text
.Lfunc_end8:
	.size	_Z5grid4iPKdPd, .Lfunc_end8-_Z5grid4iPKdPd
                                        ; -- End function
	.section	.AMDGPU.csdata,"",@progbits
; Kernel info:
; codeLenInByte = 1976
; NumSgprs: 18
; NumVgprs: 59
; ScratchSize: 0
; MemoryBound: 0
; FloatMode: 240
; IeeeMode: 1
; LDSByteSize: 0 bytes/workgroup (compile time only)
; SGPRBlocks: 2
; VGPRBlocks: 7
; NumSGPRsForWavesPerEU: 18
; NumVGPRsForWavesPerEU: 59
; Occupancy: 16
; WaveLimiterHint : 0
; COMPUTE_PGM_RSRC2:SCRATCH_EN: 0
; COMPUTE_PGM_RSRC2:USER_SGPR: 6
; COMPUTE_PGM_RSRC2:TRAP_HANDLER: 0
; COMPUTE_PGM_RSRC2:TGID_X_EN: 1
; COMPUTE_PGM_RSRC2:TGID_Y_EN: 1
; COMPUTE_PGM_RSRC2:TGID_Z_EN: 0
; COMPUTE_PGM_RSRC2:TIDIG_COMP_CNT: 1
	.text
	.protected	_Z5grid5iPKdPd          ; -- Begin function _Z5grid5iPKdPd
	.globl	_Z5grid5iPKdPd
	.p2align	8
	.type	_Z5grid5iPKdPd,@function
_Z5grid5iPKdPd:                         ; @_Z5grid5iPKdPd
; %bb.0:
	s_clause 0x1
	s_load_dword s0, s[4:5], 0x24
	s_load_dword s10, s[4:5], 0x0
	s_waitcnt lgkmcnt(0)
	s_lshr_b32 s1, s0, 16
	s_and_b32 s0, s0, 0xffff
	v_mad_u64_u32 v[24:25], null, s7, s1, v[1:2]
	v_mad_u64_u32 v[16:17], null, s6, s0, v[0:1]
	s_add_i32 s0, s10, -5
	v_max_i32_e32 v0, v16, v24
	v_min_i32_e32 v1, v24, v16
	v_cmp_gt_i32_e32 vcc_lo, s0, v0
	v_cmp_lt_i32_e64 s0, 4, v1
	s_and_b32 s0, s0, vcc_lo
	s_and_saveexec_b32 s1, s0
	s_cbranch_execz .LBB9_2
; %bb.1:
	v_add_nc_u32_e32 v0, -5, v16
	s_load_dwordx4 s[0:3], s[4:5], 0x8
	v_ashrrev_i32_e32 v49, 31, v24
	v_mul_lo_u32 v45, v16, s10
	s_mov_b32 s6, 0x789abcdf
	v_mul_lo_u32 v46, v0, s10
	s_mov_b32 s7, 0xbf523456
	s_mov_b32 s5, 0xbf847ae1
	;; [unrolled: 1-line block ×5, first 2 shown]
	v_ashrrev_i32_e32 v21, 31, v45
	v_add_nc_u32_e32 v55, s10, v45
	v_add_nc_u32_e32 v47, s10, v46
	v_ashrrev_i32_e32 v5, 31, v46
	s_mov_b32 s14, 0x1d41d41d
	s_mov_b32 s15, 0xbf5d41d4
	v_ashrrev_i32_e32 v38, 31, v55
	v_ashrrev_i32_e32 v1, 31, v47
	v_add_co_u32 v0, vcc_lo, v47, v24
	v_add_nc_u32_e32 v48, s10, v47
	v_add_nc_u32_e32 v51, s10, v55
	v_add_co_ci_u32_e32 v1, vcc_lo, v1, v49, vcc_lo
	s_mov_b32 s11, 0x3f523456
	v_ashrrev_i32_e32 v9, 31, v48
	v_add_nc_u32_e32 v50, s10, v48
	v_lshlrev_b64 v[0:1], 3, v[0:1]
	v_add_nc_u32_e32 v52, s10, v51
	v_ashrrev_i32_e32 v40, 31, v51
	s_mov_b32 s17, 0xbf911111
	v_ashrrev_i32_e32 v13, 31, v50
	v_add_nc_u32_e32 v53, s10, v50
	s_waitcnt lgkmcnt(0)
	v_add_co_u32 v27, vcc_lo, s0, v0
	v_add_co_ci_u32_e32 v28, vcc_lo, s1, v1, vcc_lo
	v_add_co_u32 v4, vcc_lo, v46, v24
	v_add_co_ci_u32_e32 v5, vcc_lo, v5, v49, vcc_lo
	global_load_dwordx4 v[0:3], v[27:28], off offset:-40
	v_ashrrev_i32_e32 v18, 31, v53
	v_ashrrev_i32_e32 v42, 31, v52
	v_lshlrev_b64 v[4:5], 3, v[4:5]
	v_add_nc_u32_e32 v54, s10, v52
	s_mov_b32 s16, 0x11111111
	s_mov_b32 s18, 0xb4e81b4f
	;; [unrolled: 1-line block ×4, first 2 shown]
	v_add_co_u32 v29, vcc_lo, s0, v4
	v_add_co_ci_u32_e32 v30, vcc_lo, s1, v5, vcc_lo
	v_add_co_u32 v8, vcc_lo, v48, v24
	v_add_co_ci_u32_e32 v9, vcc_lo, v9, v49, vcc_lo
	global_load_dwordx4 v[4:7], v[29:30], off offset:-40
	v_ashrrev_i32_e32 v44, 31, v54
	v_add_nc_u32_e32 v76, s10, v54
	v_lshlrev_b64 v[8:9], 3, v[8:9]
	s_mov_b32 s10, s6
	s_mov_b32 s12, s14
	;; [unrolled: 1-line block ×5, first 2 shown]
	v_add_co_u32 v31, vcc_lo, s0, v8
	v_add_co_ci_u32_e32 v32, vcc_lo, s1, v9, vcc_lo
	v_add_co_u32 v12, vcc_lo, v50, v24
	v_add_co_ci_u32_e32 v13, vcc_lo, v13, v49, vcc_lo
	global_load_dwordx4 v[8:11], v[31:32], off offset:-40
	s_mov_b32 s22, s16
	v_lshlrev_b64 v[12:13], 3, v[12:13]
	v_add_co_u32 v33, vcc_lo, s0, v12
	v_add_co_ci_u32_e32 v34, vcc_lo, s1, v13, vcc_lo
	v_add_co_u32 v17, vcc_lo, v53, v24
	v_add_co_ci_u32_e32 v18, vcc_lo, v18, v49, vcc_lo
	global_load_dwordx4 v[12:15], v[33:34], off offset:-40
	v_lshlrev_b64 v[17:18], 3, v[17:18]
	v_add_co_u32 v35, vcc_lo, s0, v17
	v_add_co_ci_u32_e32 v36, vcc_lo, s1, v18, vcc_lo
	v_add_co_u32 v20, vcc_lo, v24, v45
	v_add_co_ci_u32_e32 v21, vcc_lo, v49, v21, vcc_lo
	global_load_dwordx4 v[16:19], v[35:36], off offset:-40
	v_lshlrev_b64 v[20:21], 3, v[20:21]
	v_add_co_u32 v25, vcc_lo, s0, v20
	v_add_co_ci_u32_e32 v26, vcc_lo, s1, v21, vcc_lo
	v_add_co_u32 v37, vcc_lo, v55, v24
	v_add_co_ci_u32_e32 v38, vcc_lo, v38, v49, vcc_lo
	v_add_co_u32 v39, vcc_lo, v51, v24
	global_load_dwordx4 v[20:23], v[25:26], off offset:-40
	v_lshlrev_b64 v[37:38], 3, v[37:38]
	v_add_co_ci_u32_e32 v40, vcc_lo, v40, v49, vcc_lo
	v_add_co_u32 v41, vcc_lo, v52, v24
	v_add_co_ci_u32_e32 v42, vcc_lo, v42, v49, vcc_lo
	v_add_co_u32 v37, vcc_lo, s0, v37
	;; [unrolled: 2-line block ×3, first 2 shown]
	v_lshlrev_b64 v[39:40], 3, v[39:40]
	v_add_co_ci_u32_e32 v44, vcc_lo, v44, v49, vcc_lo
	v_lshlrev_b64 v[41:42], 3, v[41:42]
	v_add_co_u32 v39, vcc_lo, s0, v39
	v_lshlrev_b64 v[56:57], 3, v[43:44]
	v_add_co_ci_u32_e32 v40, vcc_lo, s1, v40, vcc_lo
	v_add_co_u32 v43, vcc_lo, s0, v41
	v_add_co_ci_u32_e32 v44, vcc_lo, s1, v42, vcc_lo
	v_add_co_u32 v41, vcc_lo, s0, v56
	v_add_co_ci_u32_e32 v42, vcc_lo, s1, v57, vcc_lo
	s_waitcnt vmcnt(5)
	v_mul_f64 v[0:1], v[0:1], s[6:7]
	s_waitcnt vmcnt(4)
	v_fma_f64 v[0:1], v[4:5], s[4:5], v[0:1]
	s_clause 0x4
	global_load_dwordx2 v[4:5], v[25:26], off offset:40
	global_load_dwordx4 v[56:59], v[37:38], off offset:-40
	global_load_dwordx4 v[60:63], v[39:40], off offset:-40
	global_load_dwordx4 v[64:67], v[43:44], off offset:-40
	global_load_dwordx4 v[68:71], v[43:44], off offset:-16
	s_mov_b32 s5, 0x3f847ae1
	s_waitcnt vmcnt(8)
	v_fma_f64 v[0:1], v[8:9], s[6:7], v[0:1]
	s_clause 0x1
	global_load_dwordx2 v[8:9], v[41:42], off offset:-40
	global_load_dwordx4 v[72:75], v[41:42], off offset:-24
	s_waitcnt vmcnt(9)
	v_fma_f64 v[0:1], v[12:13], s[6:7], v[0:1]
	s_waitcnt vmcnt(8)
	v_fma_f64 v[0:1], v[16:17], s[6:7], v[0:1]
	;; [unrolled: 2-line block ×6, first 2 shown]
	s_clause 0x1
	global_load_dwordx2 v[64:65], v[41:42], off offset:-8
	global_load_dwordx4 v[41:44], v[35:36], off offset:-24
	s_waitcnt vmcnt(3)
	v_fma_f64 v[0:1], v[8:9], s[6:7], v[0:1]
	v_fma_f64 v[0:1], v[6:7], s[6:7], v[0:1]
	;; [unrolled: 1-line block ×3, first 2 shown]
	v_ashrrev_i32_e32 v3, 31, v76
	v_add_co_u32 v2, vcc_lo, v76, v24
	s_mov_b32 s9, 0xbf999999
	v_add_co_ci_u32_e32 v3, vcc_lo, v3, v49, vcc_lo
	v_lshlrev_b64 v[2:3], 3, v[2:3]
	v_fma_f64 v[0:1], v[10:11], s[14:15], v[0:1]
	v_fma_f64 v[0:1], v[14:15], s[14:15], v[0:1]
	;; [unrolled: 1-line block ×3, first 2 shown]
	global_load_dwordx4 v[18:21], v[33:34], off offset:-24
	v_fma_f64 v[0:1], v[22:23], s[14:15], v[0:1]
	v_add_co_u32 v22, vcc_lo, s0, v2
	v_add_co_ci_u32_e32 v23, vcc_lo, s1, v3, vcc_lo
	v_fma_f64 v[6:7], v[58:59], s[14:15], v[0:1]
	s_clause 0x1
	global_load_dwordx4 v[0:3], v[22:23], off offset:-32
	global_load_dwordx4 v[56:59], v[25:26], off offset:-24
	v_fma_f64 v[10:11], v[62:63], s[14:15], v[6:7]
	s_clause 0x1
	global_load_dwordx4 v[6:9], v[29:30], off offset:-24
	global_load_dwordx4 v[60:63], v[37:38], off offset:-24
	v_fma_f64 v[14:15], v[66:67], s[14:15], v[10:11]
	global_load_dwordx4 v[10:13], v[27:28], off offset:-24
	s_waitcnt vmcnt(4)
	v_fma_f64 v[0:1], v[0:1], s[10:11], v[14:15]
	global_load_dwordx4 v[14:17], v[31:32], off offset:-24
	s_waitcnt vmcnt(3)
	v_fma_f64 v[0:1], v[6:7], s[6:7], v[0:1]
	s_clause 0x1
	global_load_dwordx2 v[6:7], v[39:40], off offset:-24
	global_load_dwordx2 v[37:38], v[39:40], off offset:-8
	s_waitcnt vmcnt(3)
	v_fma_f64 v[0:1], v[10:11], s[14:15], v[0:1]
	v_add_nc_u32_e32 v10, v47, v24
	v_ashrrev_i32_e32 v11, 31, v10
	v_lshlrev_b64 v[10:11], 3, v[10:11]
	s_waitcnt vmcnt(2)
	v_fma_f64 v[0:1], v[14:15], s[16:17], v[0:1]
	s_mov_b32 s17, 0xbf811111
	v_fma_f64 v[0:1], v[18:19], s[18:19], v[0:1]
	v_fma_f64 v[0:1], v[41:42], s[18:19], v[0:1]
	;; [unrolled: 1-line block ×4, first 2 shown]
	s_waitcnt vmcnt(1)
	v_fma_f64 v[0:1], v[6:7], s[18:19], v[0:1]
	v_fma_f64 v[0:1], v[72:73], s[12:13], v[0:1]
	;; [unrolled: 1-line block ×4, first 2 shown]
	v_add_nc_u32_e32 v8, v46, v24
	v_ashrrev_i32_e32 v9, 31, v8
	v_lshlrev_b64 v[8:9], 3, v[8:9]
	v_fma_f64 v[0:1], v[12:13], s[14:15], v[0:1]
	v_fma_f64 v[0:1], v[16:17], s[18:19], v[0:1]
	v_add_nc_u32_e32 v16, v48, v24
	v_ashrrev_i32_e32 v17, 31, v16
	v_lshlrev_b64 v[16:17], 3, v[16:17]
	v_fma_f64 v[6:7], v[20:21], s[8:9], v[0:1]
	s_clause 0x6
	global_load_dwordx4 v[0:3], v[22:23], off offset:-16
	global_load_dwordx2 v[14:15], v[29:30], off offset:-8
	global_load_dwordx2 v[18:19], v[27:28], off offset:-8
	global_load_dwordx2 v[22:23], v[31:32], off offset:-8
	global_load_dwordx2 v[27:28], v[33:34], off offset:-8
	global_load_dwordx2 v[29:30], v[35:36], off offset:-8
	global_load_dwordx2 v[31:32], v[25:26], off offset:-8
	s_mov_b32 s9, 0xbfa99999
	v_add_nc_u32_e32 v20, v50, v24
	v_add_nc_u32_e32 v33, v53, v24
	v_ashrrev_i32_e32 v21, 31, v20
	v_ashrrev_i32_e32 v34, 31, v33
	v_lshlrev_b64 v[20:21], 3, v[20:21]
	v_lshlrev_b64 v[33:34], 3, v[33:34]
	v_fma_f64 v[6:7], v[43:44], s[16:17], v[6:7]
	v_add_co_u32 v43, vcc_lo, s0, v8
	v_add_co_ci_u32_e32 v44, vcc_lo, s1, v9, vcc_lo
	v_add_co_u32 v56, vcc_lo, s0, v10
	v_add_co_ci_u32_e32 v57, vcc_lo, s1, v11, vcc_lo
	v_fma_f64 v[6:7], v[58:59], s[16:17], v[6:7]
	v_add_co_u32 v58, vcc_lo, s0, v16
	v_add_co_ci_u32_e32 v59, vcc_lo, s1, v17, vcc_lo
	v_add_co_u32 v35, vcc_lo, s0, v20
	v_add_co_ci_u32_e32 v36, vcc_lo, s1, v21, vcc_lo
	;; [unrolled: 2-line block ×3, first 2 shown]
	v_add_nc_u32_e32 v33, v76, v24
	v_ashrrev_i32_e32 v34, 31, v33
	v_fma_f64 v[6:7], v[62:63], s[16:17], v[6:7]
	global_load_dwordx2 v[62:63], v[56:57], off offset:40
	v_fma_f64 v[6:7], v[68:69], s[20:21], v[6:7]
	global_load_dwordx2 v[68:69], v[35:36], off offset:40
	v_fma_f64 v[12:13], v[74:75], s[12:13], v[6:7]
	global_load_dwordx4 v[6:9], v[43:44], off
	s_waitcnt vmcnt(9)
	v_fma_f64 v[0:1], v[0:1], s[10:11], v[12:13]
	global_load_dwordx4 v[10:13], v[56:57], off
	s_waitcnt vmcnt(9)
	;; [unrolled: 3-line block ×4, first 2 shown]
	v_fma_f64 v[0:1], v[22:23], s[18:19], v[0:1]
	global_load_dwordx2 v[22:23], v[60:61], off
	s_waitcnt vmcnt(9)
	v_fma_f64 v[0:1], v[27:28], s[16:17], v[0:1]
	s_waitcnt vmcnt(8)
	v_fma_f64 v[0:1], v[29:30], s[8:9], v[0:1]
	;; [unrolled: 2-line block ×3, first 2 shown]
	v_add_nc_u32_e32 v31, v54, v24
	v_ashrrev_i32_e32 v32, 31, v31
	v_fma_f64 v[0:1], v[37:38], s[22:23], v[0:1]
	v_fma_f64 v[0:1], v[70:71], s[20:21], v[0:1]
	;; [unrolled: 1-line block ×4, first 2 shown]
	v_add_nc_u32_e32 v2, v55, v24
	v_ashrrev_i32_e32 v3, 31, v2
	v_lshlrev_b64 v[2:3], 3, v[2:3]
	v_add_co_u32 v50, vcc_lo, s0, v2
	s_waitcnt vmcnt(4)
	v_fma_f64 v[0:1], v[6:7], s[6:7], v[0:1]
	s_waitcnt vmcnt(3)
	v_fma_f64 v[0:1], v[10:11], s[14:15], v[0:1]
	v_add_nc_u32_e32 v10, v52, v24
	v_ashrrev_i32_e32 v11, 31, v10
	v_lshlrev_b64 v[10:11], 3, v[10:11]
	s_waitcnt vmcnt(2)
	v_fma_f64 v[6:7], v[14:15], s[18:19], v[0:1]
	v_add_nc_u32_e32 v0, v51, v24
	v_add_co_ci_u32_e32 v51, vcc_lo, s1, v3, vcc_lo
	v_ashrrev_i32_e32 v1, 31, v0
	global_load_dwordx4 v[27:30], v[50:51], off
	v_lshlrev_b64 v[14:15], 3, v[0:1]
	global_load_dwordx4 v[0:3], v[35:36], off offset:24
	v_add_co_u32 v52, vcc_lo, s0, v14
	v_add_co_ci_u32_e32 v53, vcc_lo, s1, v15, vcc_lo
	v_add_co_u32 v54, vcc_lo, s0, v10
	v_lshlrev_b64 v[14:15], 3, v[31:32]
	v_add_co_ci_u32_e32 v55, vcc_lo, s1, v11, vcc_lo
	v_lshlrev_b64 v[10:11], 3, v[33:34]
	global_load_dwordx4 v[31:34], v[52:53], off
	s_waitcnt vmcnt(4)
	v_fma_f64 v[6:7], v[18:19], s[16:17], v[6:7]
	global_load_dwordx4 v[35:38], v[54:55], off
	v_add_co_u32 v64, vcc_lo, s0, v14
	v_add_co_ci_u32_e32 v65, vcc_lo, s1, v15, vcc_lo
	v_add_co_u32 v66, vcc_lo, s0, v10
	v_add_co_ci_u32_e32 v67, vcc_lo, s1, v11, vcc_lo
	s_clause 0x1
	global_load_dwordx4 v[39:42], v[64:65], off
	global_load_dwordx4 v[46:49], v[66:67], off
	s_waitcnt vmcnt(6)
	v_fma_f64 v[6:7], v[22:23], s[8:9], v[6:7]
	s_mov_b32 s9, 0x3fa99999
	s_waitcnt vmcnt(5)
	v_fma_f64 v[6:7], v[27:28], s[8:9], v[6:7]
	s_waitcnt vmcnt(3)
	v_fma_f64 v[6:7], v[31:32], s[22:23], v[6:7]
	;; [unrolled: 2-line block ×5, first 2 shown]
	v_fma_f64 v[6:7], v[8:9], s[6:7], v[6:7]
	v_fma_f64 v[6:7], v[12:13], s[14:15], v[6:7]
	;; [unrolled: 1-line block ×4, first 2 shown]
	global_load_dwordx4 v[6:9], v[25:26], off offset:8
	s_mov_b32 s17, 0x3f911111
	s_waitcnt vmcnt(0)
	v_fma_f64 v[6:7], v[6:7], s[8:9], v[10:11]
	s_clause 0x3
	global_load_dwordx4 v[10:13], v[43:44], off offset:16
	global_load_dwordx4 v[14:17], v[56:57], off offset:16
	global_load_dwordx2 v[22:23], v[58:59], off offset:16
	global_load_dwordx4 v[18:21], v[60:61], off offset:16
	v_fma_f64 v[6:7], v[29:30], s[8:9], v[6:7]
	global_load_dwordx4 v[27:30], v[58:59], off offset:32
	s_mov_b32 s9, 0x3f999999
	v_fma_f64 v[6:7], v[33:34], s[22:23], v[6:7]
	global_load_dwordx4 v[31:34], v[50:51], off offset:16
	v_fma_f64 v[6:7], v[37:38], s[20:21], v[6:7]
	global_load_dwordx4 v[35:38], v[52:53], off offset:16
	v_fma_f64 v[6:7], v[41:42], s[12:13], v[6:7]
	global_load_dwordx4 v[39:42], v[64:65], off offset:16
	v_fma_f64 v[6:7], v[48:49], s[10:11], v[6:7]
	global_load_dwordx4 v[46:49], v[66:67], off offset:16
	s_waitcnt vmcnt(8)
	v_fma_f64 v[6:7], v[10:11], s[6:7], v[6:7]
	s_waitcnt vmcnt(7)
	v_fma_f64 v[6:7], v[14:15], s[14:15], v[6:7]
	;; [unrolled: 2-line block ×4, first 2 shown]
	v_fma_f64 v[10:11], v[8:9], s[22:23], v[6:7]
	global_load_dwordx4 v[6:9], v[54:55], off offset:16
	s_waitcnt vmcnt(4)
	v_fma_f64 v[10:11], v[31:32], s[22:23], v[10:11]
	s_waitcnt vmcnt(3)
	v_fma_f64 v[10:11], v[35:36], s[8:9], v[10:11]
	s_mov_b32 s9, 0x3f899999
	s_waitcnt vmcnt(0)
	v_fma_f64 v[6:7], v[6:7], s[20:21], v[10:11]
	v_fma_f64 v[6:7], v[39:40], s[12:13], v[6:7]
	;; [unrolled: 1-line block ×5, first 2 shown]
	s_clause 0x2
	global_load_dwordx4 v[10:13], v[25:26], off offset:24
	global_load_dwordx2 v[22:23], v[43:44], off offset:32
	global_load_dwordx4 v[14:17], v[60:61], off offset:32
	v_fma_f64 v[0:1], v[0:1], s[20:21], v[6:7]
	v_fma_f64 v[0:1], v[20:21], s[20:21], v[0:1]
	s_waitcnt vmcnt(2)
	v_fma_f64 v[0:1], v[10:11], s[20:21], v[0:1]
	v_fma_f64 v[0:1], v[33:34], s[20:21], v[0:1]
	s_clause 0x1
	global_load_dwordx4 v[18:21], v[50:51], off offset:32
	global_load_dwordx4 v[31:34], v[52:53], off offset:32
	v_fma_f64 v[0:1], v[37:38], s[20:21], v[0:1]
	s_clause 0x1
	global_load_dwordx4 v[35:38], v[54:55], off offset:32
	global_load_dwordx4 v[50:53], v[64:65], off offset:32
	v_fma_f64 v[0:1], v[8:9], s[16:17], v[0:1]
	global_load_dwordx4 v[6:9], v[66:67], off offset:32
	v_fma_f64 v[0:1], v[41:42], s[12:13], v[0:1]
	v_fma_f64 v[0:1], v[48:49], s[10:11], v[0:1]
	s_waitcnt vmcnt(6)
	v_fma_f64 v[0:1], v[22:23], s[6:7], v[0:1]
	v_fma_f64 v[0:1], v[27:28], s[12:13], v[0:1]
	;; [unrolled: 1-line block ×3, first 2 shown]
	v_add_nc_u32_e32 v2, v45, v24
	v_ashrrev_i32_e32 v3, 31, v2
	v_lshlrev_b64 v[2:3], 3, v[2:3]
	v_add_co_u32 v2, vcc_lo, s2, v2
	v_add_co_ci_u32_e32 v3, vcc_lo, s3, v3, vcc_lo
	s_waitcnt vmcnt(5)
	v_fma_f64 v[0:1], v[14:15], s[12:13], v[0:1]
	global_load_dwordx2 v[10:11], v[2:3], off
	v_fma_f64 v[0:1], v[12:13], s[12:13], v[0:1]
	s_waitcnt vmcnt(5)
	v_fma_f64 v[0:1], v[18:19], s[12:13], v[0:1]
	s_waitcnt vmcnt(4)
	;; [unrolled: 2-line block ×5, first 2 shown]
	v_fma_f64 v[0:1], v[6:7], s[10:11], v[0:1]
	v_fma_f64 v[0:1], v[62:63], s[10:11], v[0:1]
	;; [unrolled: 1-line block ×11, first 2 shown]
	s_waitcnt vmcnt(0)
	v_add_f64 v[0:1], v[10:11], v[0:1]
	global_store_dwordx2 v[2:3], v[0:1], off
.LBB9_2:
	s_endpgm
	.section	.rodata,"a",@progbits
	.p2align	6, 0x0
	.amdhsa_kernel _Z5grid5iPKdPd
		.amdhsa_group_segment_fixed_size 0
		.amdhsa_private_segment_fixed_size 0
		.amdhsa_kernarg_size 280
		.amdhsa_user_sgpr_count 6
		.amdhsa_user_sgpr_private_segment_buffer 1
		.amdhsa_user_sgpr_dispatch_ptr 0
		.amdhsa_user_sgpr_queue_ptr 0
		.amdhsa_user_sgpr_kernarg_segment_ptr 1
		.amdhsa_user_sgpr_dispatch_id 0
		.amdhsa_user_sgpr_flat_scratch_init 0
		.amdhsa_user_sgpr_private_segment_size 0
		.amdhsa_wavefront_size32 1
		.amdhsa_uses_dynamic_stack 0
		.amdhsa_system_sgpr_private_segment_wavefront_offset 0
		.amdhsa_system_sgpr_workgroup_id_x 1
		.amdhsa_system_sgpr_workgroup_id_y 1
		.amdhsa_system_sgpr_workgroup_id_z 0
		.amdhsa_system_sgpr_workgroup_info 0
		.amdhsa_system_vgpr_workitem_id 1
		.amdhsa_next_free_vgpr 77
		.amdhsa_next_free_sgpr 24
		.amdhsa_reserve_vcc 1
		.amdhsa_reserve_flat_scratch 0
		.amdhsa_float_round_mode_32 0
		.amdhsa_float_round_mode_16_64 0
		.amdhsa_float_denorm_mode_32 3
		.amdhsa_float_denorm_mode_16_64 3
		.amdhsa_dx10_clamp 1
		.amdhsa_ieee_mode 1
		.amdhsa_fp16_overflow 0
		.amdhsa_workgroup_processor_mode 1
		.amdhsa_memory_ordered 1
		.amdhsa_forward_progress 0
		.amdhsa_shared_vgpr_count 0
		.amdhsa_exception_fp_ieee_invalid_op 0
		.amdhsa_exception_fp_denorm_src 0
		.amdhsa_exception_fp_ieee_div_zero 0
		.amdhsa_exception_fp_ieee_overflow 0
		.amdhsa_exception_fp_ieee_underflow 0
		.amdhsa_exception_fp_ieee_inexact 0
		.amdhsa_exception_int_div_zero 0
	.end_amdhsa_kernel
	.text
.Lfunc_end9:
	.size	_Z5grid5iPKdPd, .Lfunc_end9-_Z5grid5iPKdPd
                                        ; -- End function
	.section	.AMDGPU.csdata,"",@progbits
; Kernel info:
; codeLenInByte = 2728
; NumSgprs: 26
; NumVgprs: 77
; ScratchSize: 0
; MemoryBound: 0
; FloatMode: 240
; IeeeMode: 1
; LDSByteSize: 0 bytes/workgroup (compile time only)
; SGPRBlocks: 3
; VGPRBlocks: 9
; NumSGPRsForWavesPerEU: 26
; NumVGPRsForWavesPerEU: 77
; Occupancy: 12
; WaveLimiterHint : 0
; COMPUTE_PGM_RSRC2:SCRATCH_EN: 0
; COMPUTE_PGM_RSRC2:USER_SGPR: 6
; COMPUTE_PGM_RSRC2:TRAP_HANDLER: 0
; COMPUTE_PGM_RSRC2:TGID_X_EN: 1
; COMPUTE_PGM_RSRC2:TGID_Y_EN: 1
; COMPUTE_PGM_RSRC2:TGID_Z_EN: 0
; COMPUTE_PGM_RSRC2:TIDIG_COMP_CNT: 1
	.text
	.protected	_Z7nothingiPKdPd        ; -- Begin function _Z7nothingiPKdPd
	.globl	_Z7nothingiPKdPd
	.p2align	8
	.type	_Z7nothingiPKdPd,@function
_Z7nothingiPKdPd:                       ; @_Z7nothingiPKdPd
; %bb.0:
	s_endpgm
	.section	.rodata,"a",@progbits
	.p2align	6, 0x0
	.amdhsa_kernel _Z7nothingiPKdPd
		.amdhsa_group_segment_fixed_size 0
		.amdhsa_private_segment_fixed_size 0
		.amdhsa_kernarg_size 24
		.amdhsa_user_sgpr_count 6
		.amdhsa_user_sgpr_private_segment_buffer 1
		.amdhsa_user_sgpr_dispatch_ptr 0
		.amdhsa_user_sgpr_queue_ptr 0
		.amdhsa_user_sgpr_kernarg_segment_ptr 1
		.amdhsa_user_sgpr_dispatch_id 0
		.amdhsa_user_sgpr_flat_scratch_init 0
		.amdhsa_user_sgpr_private_segment_size 0
		.amdhsa_wavefront_size32 1
		.amdhsa_uses_dynamic_stack 0
		.amdhsa_system_sgpr_private_segment_wavefront_offset 0
		.amdhsa_system_sgpr_workgroup_id_x 1
		.amdhsa_system_sgpr_workgroup_id_y 0
		.amdhsa_system_sgpr_workgroup_id_z 0
		.amdhsa_system_sgpr_workgroup_info 0
		.amdhsa_system_vgpr_workitem_id 0
		.amdhsa_next_free_vgpr 1
		.amdhsa_next_free_sgpr 1
		.amdhsa_reserve_vcc 0
		.amdhsa_reserve_flat_scratch 0
		.amdhsa_float_round_mode_32 0
		.amdhsa_float_round_mode_16_64 0
		.amdhsa_float_denorm_mode_32 3
		.amdhsa_float_denorm_mode_16_64 3
		.amdhsa_dx10_clamp 1
		.amdhsa_ieee_mode 1
		.amdhsa_fp16_overflow 0
		.amdhsa_workgroup_processor_mode 1
		.amdhsa_memory_ordered 1
		.amdhsa_forward_progress 0
		.amdhsa_shared_vgpr_count 0
		.amdhsa_exception_fp_ieee_invalid_op 0
		.amdhsa_exception_fp_denorm_src 0
		.amdhsa_exception_fp_ieee_div_zero 0
		.amdhsa_exception_fp_ieee_overflow 0
		.amdhsa_exception_fp_ieee_underflow 0
		.amdhsa_exception_fp_ieee_inexact 0
		.amdhsa_exception_int_div_zero 0
	.end_amdhsa_kernel
	.text
.Lfunc_end10:
	.size	_Z7nothingiPKdPd, .Lfunc_end10-_Z7nothingiPKdPd
                                        ; -- End function
	.section	.AMDGPU.csdata,"",@progbits
; Kernel info:
; codeLenInByte = 4
; NumSgprs: 0
; NumVgprs: 0
; ScratchSize: 0
; MemoryBound: 0
; FloatMode: 240
; IeeeMode: 1
; LDSByteSize: 0 bytes/workgroup (compile time only)
; SGPRBlocks: 0
; VGPRBlocks: 0
; NumSGPRsForWavesPerEU: 1
; NumVGPRsForWavesPerEU: 1
; Occupancy: 16
; WaveLimiterHint : 0
; COMPUTE_PGM_RSRC2:SCRATCH_EN: 0
; COMPUTE_PGM_RSRC2:USER_SGPR: 6
; COMPUTE_PGM_RSRC2:TRAP_HANDLER: 0
; COMPUTE_PGM_RSRC2:TGID_X_EN: 1
; COMPUTE_PGM_RSRC2:TGID_Y_EN: 0
; COMPUTE_PGM_RSRC2:TGID_Z_EN: 0
; COMPUTE_PGM_RSRC2:TIDIG_COMP_CNT: 0
	.text
	.protected	_Z3addiPd               ; -- Begin function _Z3addiPd
	.globl	_Z3addiPd
	.p2align	8
	.type	_Z3addiPd,@function
_Z3addiPd:                              ; @_Z3addiPd
; %bb.0:
	s_clause 0x1
	s_load_dword s1, s[4:5], 0x1c
	s_load_dword s0, s[4:5], 0x0
	s_waitcnt lgkmcnt(0)
	s_lshr_b32 s2, s1, 16
	s_and_b32 s1, s1, 0xffff
	v_mad_u64_u32 v[2:3], null, s6, s1, v[0:1]
	s_mov_b32 s1, exec_lo
	v_mad_u64_u32 v[0:1], null, s7, s2, v[1:2]
	v_max_u32_e32 v1, v2, v0
	v_cmpx_gt_u32_e64 s0, v1
	s_cbranch_execz .LBB11_2
; %bb.1:
	s_load_dwordx2 s[2:3], s[4:5], 0x8
	v_mad_u64_u32 v[0:1], null, v2, s0, v[0:1]
	v_mov_b32_e32 v1, 0
	v_lshlrev_b64 v[0:1], 3, v[0:1]
	s_waitcnt lgkmcnt(0)
	v_add_co_u32 v0, vcc_lo, s2, v0
	v_add_co_ci_u32_e32 v1, vcc_lo, s3, v1, vcc_lo
	global_load_dwordx2 v[2:3], v[0:1], off
	s_waitcnt vmcnt(0)
	v_add_f64 v[2:3], v[2:3], 1.0
	global_store_dwordx2 v[0:1], v[2:3], off
.LBB11_2:
	s_endpgm
	.section	.rodata,"a",@progbits
	.p2align	6, 0x0
	.amdhsa_kernel _Z3addiPd
		.amdhsa_group_segment_fixed_size 0
		.amdhsa_private_segment_fixed_size 0
		.amdhsa_kernarg_size 272
		.amdhsa_user_sgpr_count 6
		.amdhsa_user_sgpr_private_segment_buffer 1
		.amdhsa_user_sgpr_dispatch_ptr 0
		.amdhsa_user_sgpr_queue_ptr 0
		.amdhsa_user_sgpr_kernarg_segment_ptr 1
		.amdhsa_user_sgpr_dispatch_id 0
		.amdhsa_user_sgpr_flat_scratch_init 0
		.amdhsa_user_sgpr_private_segment_size 0
		.amdhsa_wavefront_size32 1
		.amdhsa_uses_dynamic_stack 0
		.amdhsa_system_sgpr_private_segment_wavefront_offset 0
		.amdhsa_system_sgpr_workgroup_id_x 1
		.amdhsa_system_sgpr_workgroup_id_y 1
		.amdhsa_system_sgpr_workgroup_id_z 0
		.amdhsa_system_sgpr_workgroup_info 0
		.amdhsa_system_vgpr_workitem_id 1
		.amdhsa_next_free_vgpr 4
		.amdhsa_next_free_sgpr 8
		.amdhsa_reserve_vcc 1
		.amdhsa_reserve_flat_scratch 0
		.amdhsa_float_round_mode_32 0
		.amdhsa_float_round_mode_16_64 0
		.amdhsa_float_denorm_mode_32 3
		.amdhsa_float_denorm_mode_16_64 3
		.amdhsa_dx10_clamp 1
		.amdhsa_ieee_mode 1
		.amdhsa_fp16_overflow 0
		.amdhsa_workgroup_processor_mode 1
		.amdhsa_memory_ordered 1
		.amdhsa_forward_progress 0
		.amdhsa_shared_vgpr_count 0
		.amdhsa_exception_fp_ieee_invalid_op 0
		.amdhsa_exception_fp_denorm_src 0
		.amdhsa_exception_fp_ieee_div_zero 0
		.amdhsa_exception_fp_ieee_overflow 0
		.amdhsa_exception_fp_ieee_underflow 0
		.amdhsa_exception_fp_ieee_inexact 0
		.amdhsa_exception_int_div_zero 0
	.end_amdhsa_kernel
	.text
.Lfunc_end11:
	.size	_Z3addiPd, .Lfunc_end11-_Z3addiPd
                                        ; -- End function
	.section	.AMDGPU.csdata,"",@progbits
; Kernel info:
; codeLenInByte = 148
; NumSgprs: 10
; NumVgprs: 4
; ScratchSize: 0
; MemoryBound: 0
; FloatMode: 240
; IeeeMode: 1
; LDSByteSize: 0 bytes/workgroup (compile time only)
; SGPRBlocks: 1
; VGPRBlocks: 0
; NumSGPRsForWavesPerEU: 10
; NumVGPRsForWavesPerEU: 4
; Occupancy: 16
; WaveLimiterHint : 0
; COMPUTE_PGM_RSRC2:SCRATCH_EN: 0
; COMPUTE_PGM_RSRC2:USER_SGPR: 6
; COMPUTE_PGM_RSRC2:TRAP_HANDLER: 0
; COMPUTE_PGM_RSRC2:TGID_X_EN: 1
; COMPUTE_PGM_RSRC2:TGID_Y_EN: 1
; COMPUTE_PGM_RSRC2:TGID_Z_EN: 0
; COMPUTE_PGM_RSRC2:TIDIG_COMP_CNT: 1
	.text
	.p2alignl 6, 3214868480
	.fill 48, 4, 3214868480
	.type	__hip_cuid_95e5100209881b11,@object ; @__hip_cuid_95e5100209881b11
	.section	.bss,"aw",@nobits
	.globl	__hip_cuid_95e5100209881b11
__hip_cuid_95e5100209881b11:
	.byte	0                               ; 0x0
	.size	__hip_cuid_95e5100209881b11, 1

	.ident	"AMD clang version 19.0.0git (https://github.com/RadeonOpenCompute/llvm-project roc-6.4.0 25133 c7fe45cf4b819c5991fe208aaa96edf142730f1d)"
	.section	".note.GNU-stack","",@progbits
	.addrsig
	.addrsig_sym __hip_cuid_95e5100209881b11
	.amdgpu_metadata
---
amdhsa.kernels:
  - .args:
      - .offset:         0
        .size:           4
        .value_kind:     by_value
      - .address_space:  global
        .offset:         8
        .size:           8
        .value_kind:     global_buffer
      - .address_space:  global
        .offset:         16
        .size:           8
        .value_kind:     global_buffer
      - .offset:         24
        .size:           4
        .value_kind:     hidden_block_count_x
      - .offset:         28
        .size:           4
        .value_kind:     hidden_block_count_y
      - .offset:         32
        .size:           4
        .value_kind:     hidden_block_count_z
      - .offset:         36
        .size:           2
        .value_kind:     hidden_group_size_x
      - .offset:         38
        .size:           2
        .value_kind:     hidden_group_size_y
      - .offset:         40
        .size:           2
        .value_kind:     hidden_group_size_z
      - .offset:         42
        .size:           2
        .value_kind:     hidden_remainder_x
      - .offset:         44
        .size:           2
        .value_kind:     hidden_remainder_y
      - .offset:         46
        .size:           2
        .value_kind:     hidden_remainder_z
      - .offset:         64
        .size:           8
        .value_kind:     hidden_global_offset_x
      - .offset:         72
        .size:           8
        .value_kind:     hidden_global_offset_y
      - .offset:         80
        .size:           8
        .value_kind:     hidden_global_offset_z
      - .offset:         88
        .size:           2
        .value_kind:     hidden_grid_dims
    .group_segment_fixed_size: 0
    .kernarg_segment_align: 8
    .kernarg_segment_size: 280
    .language:       OpenCL C
    .language_version:
      - 2
      - 0
    .max_flat_workgroup_size: 1024
    .name:           _Z5star1iPKdPd
    .private_segment_fixed_size: 0
    .sgpr_count:     10
    .sgpr_spill_count: 0
    .symbol:         _Z5star1iPKdPd.kd
    .uniform_work_group_size: 1
    .uses_dynamic_stack: false
    .vgpr_count:     12
    .vgpr_spill_count: 0
    .wavefront_size: 32
    .workgroup_processor_mode: 1
  - .args:
      - .offset:         0
        .size:           4
        .value_kind:     by_value
      - .address_space:  global
        .offset:         8
        .size:           8
        .value_kind:     global_buffer
      - .address_space:  global
        .offset:         16
        .size:           8
        .value_kind:     global_buffer
      - .offset:         24
        .size:           4
        .value_kind:     hidden_block_count_x
      - .offset:         28
        .size:           4
        .value_kind:     hidden_block_count_y
      - .offset:         32
        .size:           4
        .value_kind:     hidden_block_count_z
      - .offset:         36
        .size:           2
        .value_kind:     hidden_group_size_x
      - .offset:         38
        .size:           2
        .value_kind:     hidden_group_size_y
      - .offset:         40
        .size:           2
        .value_kind:     hidden_group_size_z
      - .offset:         42
        .size:           2
        .value_kind:     hidden_remainder_x
      - .offset:         44
        .size:           2
        .value_kind:     hidden_remainder_y
      - .offset:         46
        .size:           2
        .value_kind:     hidden_remainder_z
      - .offset:         64
        .size:           8
        .value_kind:     hidden_global_offset_x
      - .offset:         72
        .size:           8
        .value_kind:     hidden_global_offset_y
      - .offset:         80
        .size:           8
        .value_kind:     hidden_global_offset_z
      - .offset:         88
        .size:           2
        .value_kind:     hidden_grid_dims
    .group_segment_fixed_size: 0
    .kernarg_segment_align: 8
    .kernarg_segment_size: 280
    .language:       OpenCL C
    .language_version:
      - 2
      - 0
    .max_flat_workgroup_size: 1024
    .name:           _Z5star2iPKdPd
    .private_segment_fixed_size: 0
    .sgpr_count:     11
    .sgpr_spill_count: 0
    .symbol:         _Z5star2iPKdPd.kd
    .uniform_work_group_size: 1
    .uses_dynamic_stack: false
    .vgpr_count:     21
    .vgpr_spill_count: 0
    .wavefront_size: 32
    .workgroup_processor_mode: 1
  - .args:
      - .offset:         0
        .size:           4
        .value_kind:     by_value
      - .address_space:  global
        .offset:         8
        .size:           8
        .value_kind:     global_buffer
      - .address_space:  global
        .offset:         16
        .size:           8
        .value_kind:     global_buffer
      - .offset:         24
        .size:           4
        .value_kind:     hidden_block_count_x
      - .offset:         28
        .size:           4
        .value_kind:     hidden_block_count_y
      - .offset:         32
        .size:           4
        .value_kind:     hidden_block_count_z
      - .offset:         36
        .size:           2
        .value_kind:     hidden_group_size_x
      - .offset:         38
        .size:           2
        .value_kind:     hidden_group_size_y
      - .offset:         40
        .size:           2
        .value_kind:     hidden_group_size_z
      - .offset:         42
        .size:           2
        .value_kind:     hidden_remainder_x
      - .offset:         44
        .size:           2
        .value_kind:     hidden_remainder_y
      - .offset:         46
        .size:           2
        .value_kind:     hidden_remainder_z
      - .offset:         64
        .size:           8
        .value_kind:     hidden_global_offset_x
      - .offset:         72
        .size:           8
        .value_kind:     hidden_global_offset_y
      - .offset:         80
        .size:           8
        .value_kind:     hidden_global_offset_z
      - .offset:         88
        .size:           2
        .value_kind:     hidden_grid_dims
    .group_segment_fixed_size: 0
    .kernarg_segment_align: 8
    .kernarg_segment_size: 280
    .language:       OpenCL C
    .language_version:
      - 2
      - 0
    .max_flat_workgroup_size: 1024
    .name:           _Z5star3iPKdPd
    .private_segment_fixed_size: 0
    .sgpr_count:     11
    .sgpr_spill_count: 0
    .symbol:         _Z5star3iPKdPd.kd
    .uniform_work_group_size: 1
    .uses_dynamic_stack: false
    .vgpr_count:     29
    .vgpr_spill_count: 0
    .wavefront_size: 32
    .workgroup_processor_mode: 1
  - .args:
      - .offset:         0
        .size:           4
        .value_kind:     by_value
      - .address_space:  global
        .offset:         8
        .size:           8
        .value_kind:     global_buffer
      - .address_space:  global
        .offset:         16
        .size:           8
        .value_kind:     global_buffer
      - .offset:         24
        .size:           4
        .value_kind:     hidden_block_count_x
      - .offset:         28
        .size:           4
        .value_kind:     hidden_block_count_y
      - .offset:         32
        .size:           4
        .value_kind:     hidden_block_count_z
      - .offset:         36
        .size:           2
        .value_kind:     hidden_group_size_x
      - .offset:         38
        .size:           2
        .value_kind:     hidden_group_size_y
      - .offset:         40
        .size:           2
        .value_kind:     hidden_group_size_z
      - .offset:         42
        .size:           2
        .value_kind:     hidden_remainder_x
      - .offset:         44
        .size:           2
        .value_kind:     hidden_remainder_y
      - .offset:         46
        .size:           2
        .value_kind:     hidden_remainder_z
      - .offset:         64
        .size:           8
        .value_kind:     hidden_global_offset_x
      - .offset:         72
        .size:           8
        .value_kind:     hidden_global_offset_y
      - .offset:         80
        .size:           8
        .value_kind:     hidden_global_offset_z
      - .offset:         88
        .size:           2
        .value_kind:     hidden_grid_dims
    .group_segment_fixed_size: 0
    .kernarg_segment_align: 8
    .kernarg_segment_size: 280
    .language:       OpenCL C
    .language_version:
      - 2
      - 0
    .max_flat_workgroup_size: 1024
    .name:           _Z5star4iPKdPd
    .private_segment_fixed_size: 0
    .sgpr_count:     11
    .sgpr_spill_count: 0
    .symbol:         _Z5star4iPKdPd.kd
    .uniform_work_group_size: 1
    .uses_dynamic_stack: false
    .vgpr_count:     35
    .vgpr_spill_count: 0
    .wavefront_size: 32
    .workgroup_processor_mode: 1
  - .args:
      - .offset:         0
        .size:           4
        .value_kind:     by_value
      - .address_space:  global
        .offset:         8
        .size:           8
        .value_kind:     global_buffer
      - .address_space:  global
        .offset:         16
        .size:           8
        .value_kind:     global_buffer
      - .offset:         24
        .size:           4
        .value_kind:     hidden_block_count_x
      - .offset:         28
        .size:           4
        .value_kind:     hidden_block_count_y
      - .offset:         32
        .size:           4
        .value_kind:     hidden_block_count_z
      - .offset:         36
        .size:           2
        .value_kind:     hidden_group_size_x
      - .offset:         38
        .size:           2
        .value_kind:     hidden_group_size_y
      - .offset:         40
        .size:           2
        .value_kind:     hidden_group_size_z
      - .offset:         42
        .size:           2
        .value_kind:     hidden_remainder_x
      - .offset:         44
        .size:           2
        .value_kind:     hidden_remainder_y
      - .offset:         46
        .size:           2
        .value_kind:     hidden_remainder_z
      - .offset:         64
        .size:           8
        .value_kind:     hidden_global_offset_x
      - .offset:         72
        .size:           8
        .value_kind:     hidden_global_offset_y
      - .offset:         80
        .size:           8
        .value_kind:     hidden_global_offset_z
      - .offset:         88
        .size:           2
        .value_kind:     hidden_grid_dims
    .group_segment_fixed_size: 0
    .kernarg_segment_align: 8
    .kernarg_segment_size: 280
    .language:       OpenCL C
    .language_version:
      - 2
      - 0
    .max_flat_workgroup_size: 1024
    .name:           _Z5star5iPKdPd
    .private_segment_fixed_size: 0
    .sgpr_count:     14
    .sgpr_spill_count: 0
    .symbol:         _Z5star5iPKdPd.kd
    .uniform_work_group_size: 1
    .uses_dynamic_stack: false
    .vgpr_count:     38
    .vgpr_spill_count: 0
    .wavefront_size: 32
    .workgroup_processor_mode: 1
  - .args:
      - .offset:         0
        .size:           4
        .value_kind:     by_value
      - .address_space:  global
        .offset:         8
        .size:           8
        .value_kind:     global_buffer
      - .address_space:  global
        .offset:         16
        .size:           8
        .value_kind:     global_buffer
      - .offset:         24
        .size:           4
        .value_kind:     hidden_block_count_x
      - .offset:         28
        .size:           4
        .value_kind:     hidden_block_count_y
      - .offset:         32
        .size:           4
        .value_kind:     hidden_block_count_z
      - .offset:         36
        .size:           2
        .value_kind:     hidden_group_size_x
      - .offset:         38
        .size:           2
        .value_kind:     hidden_group_size_y
      - .offset:         40
        .size:           2
        .value_kind:     hidden_group_size_z
      - .offset:         42
        .size:           2
        .value_kind:     hidden_remainder_x
      - .offset:         44
        .size:           2
        .value_kind:     hidden_remainder_y
      - .offset:         46
        .size:           2
        .value_kind:     hidden_remainder_z
      - .offset:         64
        .size:           8
        .value_kind:     hidden_global_offset_x
      - .offset:         72
        .size:           8
        .value_kind:     hidden_global_offset_y
      - .offset:         80
        .size:           8
        .value_kind:     hidden_global_offset_z
      - .offset:         88
        .size:           2
        .value_kind:     hidden_grid_dims
    .group_segment_fixed_size: 0
    .kernarg_segment_align: 8
    .kernarg_segment_size: 280
    .language:       OpenCL C
    .language_version:
      - 2
      - 0
    .max_flat_workgroup_size: 1024
    .name:           _Z5grid1iPKdPd
    .private_segment_fixed_size: 0
    .sgpr_count:     11
    .sgpr_spill_count: 0
    .symbol:         _Z5grid1iPKdPd.kd
    .uniform_work_group_size: 1
    .uses_dynamic_stack: false
    .vgpr_count:     16
    .vgpr_spill_count: 0
    .wavefront_size: 32
    .workgroup_processor_mode: 1
  - .args:
      - .offset:         0
        .size:           4
        .value_kind:     by_value
      - .address_space:  global
        .offset:         8
        .size:           8
        .value_kind:     global_buffer
      - .address_space:  global
        .offset:         16
        .size:           8
        .value_kind:     global_buffer
      - .offset:         24
        .size:           4
        .value_kind:     hidden_block_count_x
      - .offset:         28
        .size:           4
        .value_kind:     hidden_block_count_y
      - .offset:         32
        .size:           4
        .value_kind:     hidden_block_count_z
      - .offset:         36
        .size:           2
        .value_kind:     hidden_group_size_x
      - .offset:         38
        .size:           2
        .value_kind:     hidden_group_size_y
      - .offset:         40
        .size:           2
        .value_kind:     hidden_group_size_z
      - .offset:         42
        .size:           2
        .value_kind:     hidden_remainder_x
      - .offset:         44
        .size:           2
        .value_kind:     hidden_remainder_y
      - .offset:         46
        .size:           2
        .value_kind:     hidden_remainder_z
      - .offset:         64
        .size:           8
        .value_kind:     hidden_global_offset_x
      - .offset:         72
        .size:           8
        .value_kind:     hidden_global_offset_y
      - .offset:         80
        .size:           8
        .value_kind:     hidden_global_offset_z
      - .offset:         88
        .size:           2
        .value_kind:     hidden_grid_dims
    .group_segment_fixed_size: 0
    .kernarg_segment_align: 8
    .kernarg_segment_size: 280
    .language:       OpenCL C
    .language_version:
      - 2
      - 0
    .max_flat_workgroup_size: 1024
    .name:           _Z5grid2iPKdPd
    .private_segment_fixed_size: 0
    .sgpr_count:     11
    .sgpr_spill_count: 0
    .symbol:         _Z5grid2iPKdPd.kd
    .uniform_work_group_size: 1
    .uses_dynamic_stack: false
    .vgpr_count:     44
    .vgpr_spill_count: 0
    .wavefront_size: 32
    .workgroup_processor_mode: 1
  - .args:
      - .offset:         0
        .size:           4
        .value_kind:     by_value
      - .address_space:  global
        .offset:         8
        .size:           8
        .value_kind:     global_buffer
      - .address_space:  global
        .offset:         16
        .size:           8
        .value_kind:     global_buffer
      - .offset:         24
        .size:           4
        .value_kind:     hidden_block_count_x
      - .offset:         28
        .size:           4
        .value_kind:     hidden_block_count_y
      - .offset:         32
        .size:           4
        .value_kind:     hidden_block_count_z
      - .offset:         36
        .size:           2
        .value_kind:     hidden_group_size_x
      - .offset:         38
        .size:           2
        .value_kind:     hidden_group_size_y
      - .offset:         40
        .size:           2
        .value_kind:     hidden_group_size_z
      - .offset:         42
        .size:           2
        .value_kind:     hidden_remainder_x
      - .offset:         44
        .size:           2
        .value_kind:     hidden_remainder_y
      - .offset:         46
        .size:           2
        .value_kind:     hidden_remainder_z
      - .offset:         64
        .size:           8
        .value_kind:     hidden_global_offset_x
      - .offset:         72
        .size:           8
        .value_kind:     hidden_global_offset_y
      - .offset:         80
        .size:           8
        .value_kind:     hidden_global_offset_z
      - .offset:         88
        .size:           2
        .value_kind:     hidden_grid_dims
    .group_segment_fixed_size: 0
    .kernarg_segment_align: 8
    .kernarg_segment_size: 280
    .language:       OpenCL C
    .language_version:
      - 2
      - 0
    .max_flat_workgroup_size: 1024
    .name:           _Z5grid3iPKdPd
    .private_segment_fixed_size: 0
    .sgpr_count:     14
    .sgpr_spill_count: 0
    .symbol:         _Z5grid3iPKdPd.kd
    .uniform_work_group_size: 1
    .uses_dynamic_stack: false
    .vgpr_count:     56
    .vgpr_spill_count: 0
    .wavefront_size: 32
    .workgroup_processor_mode: 1
  - .args:
      - .offset:         0
        .size:           4
        .value_kind:     by_value
      - .address_space:  global
        .offset:         8
        .size:           8
        .value_kind:     global_buffer
      - .address_space:  global
        .offset:         16
        .size:           8
        .value_kind:     global_buffer
      - .offset:         24
        .size:           4
        .value_kind:     hidden_block_count_x
      - .offset:         28
        .size:           4
        .value_kind:     hidden_block_count_y
      - .offset:         32
        .size:           4
        .value_kind:     hidden_block_count_z
      - .offset:         36
        .size:           2
        .value_kind:     hidden_group_size_x
      - .offset:         38
        .size:           2
        .value_kind:     hidden_group_size_y
      - .offset:         40
        .size:           2
        .value_kind:     hidden_group_size_z
      - .offset:         42
        .size:           2
        .value_kind:     hidden_remainder_x
      - .offset:         44
        .size:           2
        .value_kind:     hidden_remainder_y
      - .offset:         46
        .size:           2
        .value_kind:     hidden_remainder_z
      - .offset:         64
        .size:           8
        .value_kind:     hidden_global_offset_x
      - .offset:         72
        .size:           8
        .value_kind:     hidden_global_offset_y
      - .offset:         80
        .size:           8
        .value_kind:     hidden_global_offset_z
      - .offset:         88
        .size:           2
        .value_kind:     hidden_grid_dims
    .group_segment_fixed_size: 0
    .kernarg_segment_align: 8
    .kernarg_segment_size: 280
    .language:       OpenCL C
    .language_version:
      - 2
      - 0
    .max_flat_workgroup_size: 1024
    .name:           _Z5grid4iPKdPd
    .private_segment_fixed_size: 0
    .sgpr_count:     18
    .sgpr_spill_count: 0
    .symbol:         _Z5grid4iPKdPd.kd
    .uniform_work_group_size: 1
    .uses_dynamic_stack: false
    .vgpr_count:     59
    .vgpr_spill_count: 0
    .wavefront_size: 32
    .workgroup_processor_mode: 1
  - .args:
      - .offset:         0
        .size:           4
        .value_kind:     by_value
      - .address_space:  global
        .offset:         8
        .size:           8
        .value_kind:     global_buffer
      - .address_space:  global
        .offset:         16
        .size:           8
        .value_kind:     global_buffer
      - .offset:         24
        .size:           4
        .value_kind:     hidden_block_count_x
      - .offset:         28
        .size:           4
        .value_kind:     hidden_block_count_y
      - .offset:         32
        .size:           4
        .value_kind:     hidden_block_count_z
      - .offset:         36
        .size:           2
        .value_kind:     hidden_group_size_x
      - .offset:         38
        .size:           2
        .value_kind:     hidden_group_size_y
      - .offset:         40
        .size:           2
        .value_kind:     hidden_group_size_z
      - .offset:         42
        .size:           2
        .value_kind:     hidden_remainder_x
      - .offset:         44
        .size:           2
        .value_kind:     hidden_remainder_y
      - .offset:         46
        .size:           2
        .value_kind:     hidden_remainder_z
      - .offset:         64
        .size:           8
        .value_kind:     hidden_global_offset_x
      - .offset:         72
        .size:           8
        .value_kind:     hidden_global_offset_y
      - .offset:         80
        .size:           8
        .value_kind:     hidden_global_offset_z
      - .offset:         88
        .size:           2
        .value_kind:     hidden_grid_dims
    .group_segment_fixed_size: 0
    .kernarg_segment_align: 8
    .kernarg_segment_size: 280
    .language:       OpenCL C
    .language_version:
      - 2
      - 0
    .max_flat_workgroup_size: 1024
    .name:           _Z5grid5iPKdPd
    .private_segment_fixed_size: 0
    .sgpr_count:     26
    .sgpr_spill_count: 0
    .symbol:         _Z5grid5iPKdPd.kd
    .uniform_work_group_size: 1
    .uses_dynamic_stack: false
    .vgpr_count:     77
    .vgpr_spill_count: 0
    .wavefront_size: 32
    .workgroup_processor_mode: 1
  - .args:
      - .offset:         0
        .size:           4
        .value_kind:     by_value
      - .address_space:  global
        .offset:         8
        .size:           8
        .value_kind:     global_buffer
      - .address_space:  global
        .offset:         16
        .size:           8
        .value_kind:     global_buffer
    .group_segment_fixed_size: 0
    .kernarg_segment_align: 8
    .kernarg_segment_size: 24
    .language:       OpenCL C
    .language_version:
      - 2
      - 0
    .max_flat_workgroup_size: 1024
    .name:           _Z7nothingiPKdPd
    .private_segment_fixed_size: 0
    .sgpr_count:     0
    .sgpr_spill_count: 0
    .symbol:         _Z7nothingiPKdPd.kd
    .uniform_work_group_size: 1
    .uses_dynamic_stack: false
    .vgpr_count:     0
    .vgpr_spill_count: 0
    .wavefront_size: 32
    .workgroup_processor_mode: 1
  - .args:
      - .offset:         0
        .size:           4
        .value_kind:     by_value
      - .address_space:  global
        .offset:         8
        .size:           8
        .value_kind:     global_buffer
      - .offset:         16
        .size:           4
        .value_kind:     hidden_block_count_x
      - .offset:         20
        .size:           4
        .value_kind:     hidden_block_count_y
      - .offset:         24
        .size:           4
        .value_kind:     hidden_block_count_z
      - .offset:         28
        .size:           2
        .value_kind:     hidden_group_size_x
      - .offset:         30
        .size:           2
        .value_kind:     hidden_group_size_y
      - .offset:         32
        .size:           2
        .value_kind:     hidden_group_size_z
      - .offset:         34
        .size:           2
        .value_kind:     hidden_remainder_x
      - .offset:         36
        .size:           2
        .value_kind:     hidden_remainder_y
      - .offset:         38
        .size:           2
        .value_kind:     hidden_remainder_z
      - .offset:         56
        .size:           8
        .value_kind:     hidden_global_offset_x
      - .offset:         64
        .size:           8
        .value_kind:     hidden_global_offset_y
      - .offset:         72
        .size:           8
        .value_kind:     hidden_global_offset_z
      - .offset:         80
        .size:           2
        .value_kind:     hidden_grid_dims
    .group_segment_fixed_size: 0
    .kernarg_segment_align: 8
    .kernarg_segment_size: 272
    .language:       OpenCL C
    .language_version:
      - 2
      - 0
    .max_flat_workgroup_size: 1024
    .name:           _Z3addiPd
    .private_segment_fixed_size: 0
    .sgpr_count:     10
    .sgpr_spill_count: 0
    .symbol:         _Z3addiPd.kd
    .uniform_work_group_size: 1
    .uses_dynamic_stack: false
    .vgpr_count:     4
    .vgpr_spill_count: 0
    .wavefront_size: 32
    .workgroup_processor_mode: 1
amdhsa.target:   amdgcn-amd-amdhsa--gfx1030
amdhsa.version:
  - 1
  - 2
...

	.end_amdgpu_metadata
